;; amdgpu-corpus repo=ROCm/rocFFT kind=compiled arch=gfx906 opt=O3
	.text
	.amdgcn_target "amdgcn-amd-amdhsa--gfx906"
	.amdhsa_code_object_version 6
	.protected	fft_rtc_fwd_len2880_factors_10_6_6_2_2_2_wgs_96_tpt_96_halfLds_half_ip_CI_unitstride_sbrr_R2C_dirReg ; -- Begin function fft_rtc_fwd_len2880_factors_10_6_6_2_2_2_wgs_96_tpt_96_halfLds_half_ip_CI_unitstride_sbrr_R2C_dirReg
	.globl	fft_rtc_fwd_len2880_factors_10_6_6_2_2_2_wgs_96_tpt_96_halfLds_half_ip_CI_unitstride_sbrr_R2C_dirReg
	.p2align	8
	.type	fft_rtc_fwd_len2880_factors_10_6_6_2_2_2_wgs_96_tpt_96_halfLds_half_ip_CI_unitstride_sbrr_R2C_dirReg,@function
fft_rtc_fwd_len2880_factors_10_6_6_2_2_2_wgs_96_tpt_96_halfLds_half_ip_CI_unitstride_sbrr_R2C_dirReg: ; @fft_rtc_fwd_len2880_factors_10_6_6_2_2_2_wgs_96_tpt_96_halfLds_half_ip_CI_unitstride_sbrr_R2C_dirReg
; %bb.0:
	s_load_dwordx2 s[2:3], s[4:5], 0x50
	s_load_dwordx4 s[8:11], s[4:5], 0x0
	s_load_dwordx2 s[12:13], s[4:5], 0x18
	v_mul_u32_u24_e32 v1, 0x2ab, v0
	v_add_u32_sdwa v5, s6, v1 dst_sel:DWORD dst_unused:UNUSED_PAD src0_sel:DWORD src1_sel:WORD_1
	v_mov_b32_e32 v3, 0
	s_waitcnt lgkmcnt(0)
	v_cmp_lt_u64_e64 s[0:1], s[10:11], 2
	v_mov_b32_e32 v1, 0
	v_mov_b32_e32 v6, v3
	s_and_b64 vcc, exec, s[0:1]
	v_mov_b32_e32 v2, 0
	s_cbranch_vccnz .LBB0_8
; %bb.1:
	s_load_dwordx2 s[0:1], s[4:5], 0x10
	s_add_u32 s6, s12, 8
	s_addc_u32 s7, s13, 0
	v_mov_b32_e32 v1, 0
	v_mov_b32_e32 v2, 0
	s_waitcnt lgkmcnt(0)
	s_add_u32 s14, s0, 8
	s_addc_u32 s15, s1, 0
	s_mov_b64 s[16:17], 1
.LBB0_2:                                ; =>This Inner Loop Header: Depth=1
	s_load_dwordx2 s[18:19], s[14:15], 0x0
                                        ; implicit-def: $vgpr7_vgpr8
	s_waitcnt lgkmcnt(0)
	v_or_b32_e32 v4, s19, v6
	v_cmp_ne_u64_e32 vcc, 0, v[3:4]
	s_and_saveexec_b64 s[0:1], vcc
	s_xor_b64 s[20:21], exec, s[0:1]
	s_cbranch_execz .LBB0_4
; %bb.3:                                ;   in Loop: Header=BB0_2 Depth=1
	v_cvt_f32_u32_e32 v4, s18
	v_cvt_f32_u32_e32 v7, s19
	s_sub_u32 s0, 0, s18
	s_subb_u32 s1, 0, s19
	v_mac_f32_e32 v4, 0x4f800000, v7
	v_rcp_f32_e32 v4, v4
	v_mul_f32_e32 v4, 0x5f7ffffc, v4
	v_mul_f32_e32 v7, 0x2f800000, v4
	v_trunc_f32_e32 v7, v7
	v_mac_f32_e32 v4, 0xcf800000, v7
	v_cvt_u32_f32_e32 v7, v7
	v_cvt_u32_f32_e32 v4, v4
	v_mul_lo_u32 v8, s0, v7
	v_mul_hi_u32 v9, s0, v4
	v_mul_lo_u32 v11, s1, v4
	v_mul_lo_u32 v10, s0, v4
	v_add_u32_e32 v8, v9, v8
	v_add_u32_e32 v8, v8, v11
	v_mul_hi_u32 v9, v4, v10
	v_mul_lo_u32 v11, v4, v8
	v_mul_hi_u32 v13, v4, v8
	v_mul_hi_u32 v12, v7, v10
	v_mul_lo_u32 v10, v7, v10
	v_mul_hi_u32 v14, v7, v8
	v_add_co_u32_e32 v9, vcc, v9, v11
	v_addc_co_u32_e32 v11, vcc, 0, v13, vcc
	v_mul_lo_u32 v8, v7, v8
	v_add_co_u32_e32 v9, vcc, v9, v10
	v_addc_co_u32_e32 v9, vcc, v11, v12, vcc
	v_addc_co_u32_e32 v10, vcc, 0, v14, vcc
	v_add_co_u32_e32 v8, vcc, v9, v8
	v_addc_co_u32_e32 v9, vcc, 0, v10, vcc
	v_add_co_u32_e32 v4, vcc, v4, v8
	v_addc_co_u32_e32 v7, vcc, v7, v9, vcc
	v_mul_lo_u32 v8, s0, v7
	v_mul_hi_u32 v9, s0, v4
	v_mul_lo_u32 v10, s1, v4
	v_mul_lo_u32 v11, s0, v4
	v_add_u32_e32 v8, v9, v8
	v_add_u32_e32 v8, v8, v10
	v_mul_lo_u32 v12, v4, v8
	v_mul_hi_u32 v13, v4, v11
	v_mul_hi_u32 v14, v4, v8
	;; [unrolled: 1-line block ×3, first 2 shown]
	v_mul_lo_u32 v11, v7, v11
	v_mul_hi_u32 v9, v7, v8
	v_add_co_u32_e32 v12, vcc, v13, v12
	v_addc_co_u32_e32 v13, vcc, 0, v14, vcc
	v_mul_lo_u32 v8, v7, v8
	v_add_co_u32_e32 v11, vcc, v12, v11
	v_addc_co_u32_e32 v10, vcc, v13, v10, vcc
	v_addc_co_u32_e32 v9, vcc, 0, v9, vcc
	v_add_co_u32_e32 v8, vcc, v10, v8
	v_addc_co_u32_e32 v9, vcc, 0, v9, vcc
	v_add_co_u32_e32 v4, vcc, v4, v8
	v_addc_co_u32_e32 v9, vcc, v7, v9, vcc
	v_mad_u64_u32 v[7:8], s[0:1], v5, v9, 0
	v_mul_hi_u32 v10, v5, v4
	v_add_co_u32_e32 v11, vcc, v10, v7
	v_addc_co_u32_e32 v12, vcc, 0, v8, vcc
	v_mad_u64_u32 v[7:8], s[0:1], v6, v4, 0
	v_mad_u64_u32 v[9:10], s[0:1], v6, v9, 0
	v_add_co_u32_e32 v4, vcc, v11, v7
	v_addc_co_u32_e32 v4, vcc, v12, v8, vcc
	v_addc_co_u32_e32 v7, vcc, 0, v10, vcc
	v_add_co_u32_e32 v4, vcc, v4, v9
	v_addc_co_u32_e32 v9, vcc, 0, v7, vcc
	v_mul_lo_u32 v10, s19, v4
	v_mul_lo_u32 v11, s18, v9
	v_mad_u64_u32 v[7:8], s[0:1], s18, v4, 0
	v_add3_u32 v8, v8, v11, v10
	v_sub_u32_e32 v10, v6, v8
	v_mov_b32_e32 v11, s19
	v_sub_co_u32_e32 v7, vcc, v5, v7
	v_subb_co_u32_e64 v10, s[0:1], v10, v11, vcc
	v_subrev_co_u32_e64 v11, s[0:1], s18, v7
	v_subbrev_co_u32_e64 v10, s[0:1], 0, v10, s[0:1]
	v_cmp_le_u32_e64 s[0:1], s19, v10
	v_cndmask_b32_e64 v12, 0, -1, s[0:1]
	v_cmp_le_u32_e64 s[0:1], s18, v11
	v_cndmask_b32_e64 v11, 0, -1, s[0:1]
	v_cmp_eq_u32_e64 s[0:1], s19, v10
	v_cndmask_b32_e64 v10, v12, v11, s[0:1]
	v_add_co_u32_e64 v11, s[0:1], 2, v4
	v_addc_co_u32_e64 v12, s[0:1], 0, v9, s[0:1]
	v_add_co_u32_e64 v13, s[0:1], 1, v4
	v_addc_co_u32_e64 v14, s[0:1], 0, v9, s[0:1]
	v_subb_co_u32_e32 v8, vcc, v6, v8, vcc
	v_cmp_ne_u32_e64 s[0:1], 0, v10
	v_cmp_le_u32_e32 vcc, s19, v8
	v_cndmask_b32_e64 v10, v14, v12, s[0:1]
	v_cndmask_b32_e64 v12, 0, -1, vcc
	v_cmp_le_u32_e32 vcc, s18, v7
	v_cndmask_b32_e64 v7, 0, -1, vcc
	v_cmp_eq_u32_e32 vcc, s19, v8
	v_cndmask_b32_e32 v7, v12, v7, vcc
	v_cmp_ne_u32_e32 vcc, 0, v7
	v_cndmask_b32_e64 v7, v13, v11, s[0:1]
	v_cndmask_b32_e32 v8, v9, v10, vcc
	v_cndmask_b32_e32 v7, v4, v7, vcc
.LBB0_4:                                ;   in Loop: Header=BB0_2 Depth=1
	s_andn2_saveexec_b64 s[0:1], s[20:21]
	s_cbranch_execz .LBB0_6
; %bb.5:                                ;   in Loop: Header=BB0_2 Depth=1
	v_cvt_f32_u32_e32 v4, s18
	s_sub_i32 s20, 0, s18
	v_rcp_iflag_f32_e32 v4, v4
	v_mul_f32_e32 v4, 0x4f7ffffe, v4
	v_cvt_u32_f32_e32 v4, v4
	v_mul_lo_u32 v7, s20, v4
	v_mul_hi_u32 v7, v4, v7
	v_add_u32_e32 v4, v4, v7
	v_mul_hi_u32 v4, v5, v4
	v_mul_lo_u32 v7, v4, s18
	v_add_u32_e32 v8, 1, v4
	v_sub_u32_e32 v7, v5, v7
	v_subrev_u32_e32 v9, s18, v7
	v_cmp_le_u32_e32 vcc, s18, v7
	v_cndmask_b32_e32 v7, v7, v9, vcc
	v_cndmask_b32_e32 v4, v4, v8, vcc
	v_add_u32_e32 v8, 1, v4
	v_cmp_le_u32_e32 vcc, s18, v7
	v_cndmask_b32_e32 v7, v4, v8, vcc
	v_mov_b32_e32 v8, v3
.LBB0_6:                                ;   in Loop: Header=BB0_2 Depth=1
	s_or_b64 exec, exec, s[0:1]
	v_mul_lo_u32 v4, v8, s18
	v_mul_lo_u32 v11, v7, s19
	v_mad_u64_u32 v[9:10], s[0:1], v7, s18, 0
	s_load_dwordx2 s[0:1], s[6:7], 0x0
	s_add_u32 s16, s16, 1
	v_add3_u32 v4, v10, v11, v4
	v_sub_co_u32_e32 v5, vcc, v5, v9
	v_subb_co_u32_e32 v4, vcc, v6, v4, vcc
	s_waitcnt lgkmcnt(0)
	v_mul_lo_u32 v4, s0, v4
	v_mul_lo_u32 v6, s1, v5
	v_mad_u64_u32 v[1:2], s[0:1], s0, v5, v[1:2]
	s_addc_u32 s17, s17, 0
	s_add_u32 s6, s6, 8
	v_add3_u32 v2, v6, v2, v4
	v_mov_b32_e32 v4, s10
	v_mov_b32_e32 v5, s11
	s_addc_u32 s7, s7, 0
	v_cmp_ge_u64_e32 vcc, s[16:17], v[4:5]
	s_add_u32 s14, s14, 8
	s_addc_u32 s15, s15, 0
	s_cbranch_vccnz .LBB0_9
; %bb.7:                                ;   in Loop: Header=BB0_2 Depth=1
	v_mov_b32_e32 v5, v7
	v_mov_b32_e32 v6, v8
	s_branch .LBB0_2
.LBB0_8:
	v_mov_b32_e32 v8, v6
	v_mov_b32_e32 v7, v5
.LBB0_9:
	s_lshl_b64 s[0:1], s[10:11], 3
	s_add_u32 s0, s12, s0
	s_addc_u32 s1, s13, s1
	s_load_dwordx2 s[6:7], s[0:1], 0x0
	s_load_dwordx2 s[10:11], s[4:5], 0x20
                                        ; implicit-def: $vgpr18
                                        ; implicit-def: $vgpr16
                                        ; implicit-def: $vgpr38
                                        ; implicit-def: $vgpr24
                                        ; implicit-def: $vgpr42
                                        ; implicit-def: $vgpr40
                                        ; implicit-def: $vgpr36
                                        ; implicit-def: $vgpr34
                                        ; implicit-def: $vgpr32
                                        ; implicit-def: $vgpr30
                                        ; implicit-def: $vgpr26
                                        ; implicit-def: $vgpr20
                                        ; implicit-def: $vgpr22
                                        ; implicit-def: $vgpr28
	s_waitcnt lgkmcnt(0)
	v_mad_u64_u32 v[1:2], s[0:1], s6, v7, v[1:2]
	s_mov_b32 s0, 0x2aaaaab
	v_mul_lo_u32 v3, s6, v8
	v_mul_lo_u32 v4, s7, v7
	v_mul_hi_u32 v5, v0, s0
	v_cmp_gt_u64_e32 vcc, s[10:11], v[7:8]
	v_cmp_le_u64_e64 s[0:1], s[10:11], v[7:8]
	v_add3_u32 v2, v4, v2, v3
	v_mul_u32_u24_e32 v3, 0x60, v5
	v_sub_u32_e32 v12, v0, v3
	s_and_saveexec_b64 s[4:5], s[0:1]
	s_xor_b64 s[0:1], exec, s[4:5]
	s_cbranch_execz .LBB0_11
; %bb.10:
	v_mov_b32_e32 v13, 0
	v_add_u32_e32 v18, 0x60, v12
	v_add_u32_e32 v16, 0xc0, v12
	;; [unrolled: 1-line block ×5, first 2 shown]
	v_or_b32_e32 v40, 0x180, v12
	v_add_u32_e32 v36, 0x240, v12
	v_add_u32_e32 v34, 0x2a0, v12
	v_or_b32_e32 v32, 0x300, v12
	v_add_u32_e32 v30, 0x360, v12
	v_add_u32_e32 v26, 0x420, v12
	v_or_b32_e32 v20, 0x480, v12
	v_add_u32_e32 v22, 0x4e0, v12
	v_mov_b32_e32 v19, v13
	v_mov_b32_e32 v17, v13
	;; [unrolled: 1-line block ×13, first 2 shown]
	v_add_u32_e32 v28, 0x540, v12
	v_mov_b32_e32 v29, v13
.LBB0_11:
	s_or_saveexec_b64 s[4:5], s[0:1]
	v_lshlrev_b64 v[14:15], 2, v[1:2]
	s_xor_b64 exec, exec, s[4:5]
	s_cbranch_execz .LBB0_13
; %bb.12:
	v_mov_b32_e32 v13, 0
	v_mov_b32_e32 v0, s3
	v_add_co_u32_e64 v18, s[0:1], s2, v14
	v_addc_co_u32_e64 v19, s[0:1], v0, v15, s[0:1]
	v_lshlrev_b64 v[0:1], 2, v[12:13]
	v_or_b32_e32 v20, 0x480, v12
	v_mov_b32_e32 v21, v13
	v_add_co_u32_e64 v0, s[0:1], v18, v0
	v_lshlrev_b64 v[10:11], 2, v[20:21]
	v_addc_co_u32_e64 v1, s[0:1], v19, v1, s[0:1]
	v_or_b32_e32 v2, 0x600, v12
	v_mov_b32_e32 v3, v13
	v_lshlrev_b64 v[2:3], 2, v[2:3]
	v_add_co_u32_e64 v10, s[0:1], v18, v10
	v_addc_co_u32_e64 v11, s[0:1], v19, v11, s[0:1]
	global_load_dword v22, v[0:1], off
	global_load_dword v23, v[0:1], off offset:1152
	global_load_dword v24, v[0:1], off offset:1536
	;; [unrolled: 1-line block ×7, first 2 shown]
	v_add_co_u32_e64 v2, s[0:1], v18, v2
	s_movk_i32 s6, 0x1000
	v_or_b32_e32 v4, 0x780, v12
	v_mov_b32_e32 v5, v13
	v_addc_co_u32_e64 v3, s[0:1], v19, v3, s[0:1]
	v_lshlrev_b64 v[4:5], 2, v[4:5]
	v_add_co_u32_e64 v16, s[0:1], s6, v0
	global_load_dword v30, v[0:1], off offset:3072
	global_load_dword v31, v[0:1], off offset:3456
	v_addc_co_u32_e64 v17, s[0:1], 0, v1, s[0:1]
	v_add_co_u32_e64 v4, s[0:1], v18, v4
	s_movk_i32 s7, 0x2000
	v_or_b32_e32 v6, 0x900, v12
	v_mov_b32_e32 v7, v13
	global_load_dword v32, v[0:1], off offset:3840
	global_load_dword v33, v[16:17], off offset:128
	;; [unrolled: 1-line block ×3, first 2 shown]
	global_load_dword v35, v[10:11], off
	v_addc_co_u32_e64 v5, s[0:1], v19, v5, s[0:1]
	global_load_dword v10, v[16:17], off offset:1280
	global_load_dword v11, v[16:17], off offset:1664
	global_load_dword v36, v[2:3], off
	global_load_dword v37, v[16:17], off offset:2432
	v_add_co_u32_e64 v0, s[0:1], s7, v0
	v_lshlrev_b64 v[2:3], 2, v[6:7]
	v_or_b32_e32 v8, 0xa80, v12
	v_mov_b32_e32 v9, v13
	v_addc_co_u32_e64 v1, s[0:1], 0, v1, s[0:1]
	global_load_dword v44, v[16:17], off offset:2816
	global_load_dword v45, v[16:17], off offset:3200
	global_load_dword v46, v[4:5], off
	global_load_dword v47, v[0:1], off offset:256
	global_load_dword v48, v[0:1], off offset:640
	;; [unrolled: 1-line block ×3, first 2 shown]
	v_lshlrev_b64 v[4:5], 2, v[8:9]
	v_add_co_u32_e64 v2, s[0:1], v18, v2
	v_addc_co_u32_e64 v3, s[0:1], v19, v3, s[0:1]
	global_load_dword v6, v[2:3], off
	global_load_dword v7, v[0:1], off offset:1408
	global_load_dword v8, v[0:1], off offset:1792
	;; [unrolled: 1-line block ×3, first 2 shown]
	v_add_co_u32_e64 v2, s[0:1], v18, v4
	v_addc_co_u32_e64 v3, s[0:1], v19, v5, s[0:1]
	global_load_dword v4, v[2:3], off
	global_load_dword v5, v[0:1], off offset:2944
	v_lshl_add_u32 v0, v12, 2, 0
	v_add_u32_e32 v1, 0x200, v0
	v_add_u32_e32 v18, 0x60, v12
	v_mov_b32_e32 v19, v13
	v_add_u32_e32 v16, 0xc0, v12
	v_mov_b32_e32 v17, v13
	;; [unrolled: 2-line block ×3, first 2 shown]
	v_or_b32_e32 v40, 0x180, v12
	v_mov_b32_e32 v41, v13
	v_add_u32_e32 v38, 0x1e0, v12
	v_mov_b32_e32 v39, v13
	s_waitcnt vmcnt(23)
	ds_write2_b32 v1, v28, v23 offset0:64 offset1:160
	s_waitcnt vmcnt(22)
	ds_write2_b32 v0, v22, v29 offset1:96
	v_add_u32_e32 v1, 0x400, v0
	ds_write2_b32 v1, v24, v25 offset0:128 offset1:224
	v_add_u32_e32 v1, 0x800, v0
	ds_write2_b32 v1, v26, v27 offset0:64 offset1:160
	v_add_u32_e32 v1, 0xc00, v0
	v_add_u32_e32 v24, 0x3c0, v12
	v_mov_b32_e32 v25, v13
	v_add_u32_e32 v26, 0x420, v12
	v_mov_b32_e32 v27, v13
	v_add_u32_e32 v22, 0x4e0, v12
	s_waitcnt vmcnt(20)
	ds_write2_b32 v1, v30, v31 offset1:96
	v_add_u32_e32 v1, 0xe00, v0
	v_add_u32_e32 v30, 0x360, v12
	v_mov_b32_e32 v31, v13
	v_mov_b32_e32 v23, v13
	v_add_u32_e32 v28, 0x540, v12
	s_waitcnt vmcnt(18)
	ds_write2_b32 v1, v32, v33 offset0:64 offset1:160
	v_add_u32_e32 v1, 0x1000, v0
	s_waitcnt vmcnt(16)
	ds_write2_b32 v1, v35, v34 offset0:128 offset1:224
	;; [unrolled: 3-line block ×3, first 2 shown]
	v_add_u32_e32 v1, 0x1800, v0
	s_waitcnt vmcnt(12)
	ds_write2_b32 v1, v36, v37 offset1:96
	v_add_u32_e32 v1, 0x1a00, v0
	v_add_u32_e32 v36, 0x240, v12
	s_waitcnt vmcnt(10)
	ds_write2_b32 v1, v44, v45 offset0:64 offset1:160
	v_add_u32_e32 v1, 0x1c00, v0
	v_mov_b32_e32 v37, v13
	v_add_u32_e32 v34, 0x2a0, v12
	s_waitcnt vmcnt(6)
	ds_write2_b32 v1, v46, v49 offset0:128 offset1:224
	v_add_u32_e32 v1, 0x2000, v0
	ds_write2_b32 v1, v47, v48 offset0:64 offset1:160
	v_add_u32_e32 v1, 0x2400, v0
	v_mov_b32_e32 v35, v13
	v_or_b32_e32 v32, 0x300, v12
	v_mov_b32_e32 v33, v13
	s_waitcnt vmcnt(4)
	ds_write2_b32 v1, v6, v7 offset1:96
	v_add_u32_e32 v1, 0x2600, v0
	v_add_u32_e32 v0, 0x2800, v0
	v_mov_b32_e32 v29, v13
	s_waitcnt vmcnt(2)
	ds_write2_b32 v1, v8, v9 offset0:64 offset1:160
	s_waitcnt vmcnt(0)
	ds_write2_b32 v0, v4, v5 offset0:128 offset1:224
.LBB0_13:
	s_or_b64 exec, exec, s[4:5]
	v_lshlrev_b32_e32 v57, 2, v12
	v_add_u32_e32 v56, 0, v57
	v_add_u32_e32 v4, 0x800, v56
	;; [unrolled: 1-line block ×3, first 2 shown]
	s_waitcnt lgkmcnt(0)
	s_barrier
	v_add_u32_e32 v0, 0xc00, v56
	v_add_u32_e32 v44, 0x1400, v56
	ds_read2_b32 v[4:5], v4 offset0:64 offset1:160
	ds_read2_b32 v[6:7], v45 offset0:64 offset1:160
	v_add_u32_e32 v59, 0x2400, v56
	ds_read2_b32 v[0:1], v0 offset1:96
	ds_read2_b32 v[2:3], v44 offset0:64 offset1:160
	v_add_u32_e32 v58, 0x1c00, v56
	v_add_u32_e32 v46, 0x1000, v56
	ds_read2_b32 v[8:9], v59 offset1:96
	ds_read2_b32 v[10:11], v46 offset0:128 offset1:224
	ds_read2_b32 v[47:48], v58 offset0:128 offset1:224
	v_add_u32_e32 v66, 0x2600, v56
	ds_read2_b32 v[51:52], v66 offset0:64 offset1:160
	s_waitcnt lgkmcnt(3)
	v_sub_f16_e32 v50, v8, v6
	s_waitcnt lgkmcnt(2)
	v_sub_f16_e32 v53, v4, v10
	v_add_f16_e32 v55, v53, v50
	v_sub_f16_sdwa v50, v4, v10 dst_sel:DWORD dst_unused:UNUSED_PAD src0_sel:WORD_1 src1_sel:WORD_1
	v_sub_f16_sdwa v53, v8, v6 dst_sel:DWORD dst_unused:UNUSED_PAD src0_sel:WORD_1 src1_sel:WORD_1
	v_add_f16_e32 v76, v50, v53
	s_waitcnt lgkmcnt(0)
	v_sub_f16_e32 v50, v52, v48
	v_sub_f16_e32 v53, v1, v3
	v_add_u32_e32 v49, 0x200, v56
	v_add_f16_e32 v77, v53, v50
	v_sub_f16_sdwa v50, v1, v3 dst_sel:DWORD dst_unused:UNUSED_PAD src0_sel:WORD_1 src1_sel:WORD_1
	v_sub_f16_sdwa v53, v52, v48 dst_sel:DWORD dst_unused:UNUSED_PAD src0_sel:WORD_1 src1_sel:WORD_1
	v_add_f16_e32 v78, v50, v53
	ds_read2_b32 v[53:54], v49 offset0:64 offset1:160
	v_add_f16_sdwa v60, v3, v48 dst_sel:DWORD dst_unused:UNUSED_PAD src0_sel:WORD_1 src1_sel:WORD_1
	s_mov_b32 s5, 0xbb9c
	v_sub_f16_e32 v83, v1, v52
	s_mov_b32 s1, 0xb8b4
	s_waitcnt lgkmcnt(0)
	v_lshrrev_b32_e32 v81, 16, v54
	v_fma_f16 v82, v60, -0.5, v81
	v_add_f16_e32 v49, v3, v48
	v_fma_f16 v60, v83, s5, v82
	v_sub_f16_e32 v84, v3, v48
	s_movk_i32 s4, 0x3b9c
	s_movk_i32 s6, 0x34f2
	v_fma_f16 v49, v49, -0.5, v54
	v_sub_f16_sdwa v79, v1, v52 dst_sel:DWORD dst_unused:UNUSED_PAD src0_sel:WORD_1 src1_sel:WORD_1
	v_fma_f16 v60, v84, s1, v60
	s_movk_i32 s0, 0x38b4
	v_fma_f16 v50, v79, s4, v49
	v_sub_f16_sdwa v80, v3, v48 dst_sel:DWORD dst_unused:UNUSED_PAD src0_sel:WORD_1 src1_sel:WORD_1
	v_fma_f16 v62, v78, s6, v60
	ds_read2_b32 v[60:61], v56 offset1:96
	v_fma_f16 v50, v80, s0, v50
	v_fma_f16 v50, v77, s6, v50
	s_movk_i32 s7, 0x3a79
	v_mul_f16_e32 v63, 0x3a79, v50
	v_mul_f16_e32 v50, 0xb8b4, v50
	v_fma_f16 v86, v62, s7, v50
	v_add_f16_e32 v50, v10, v6
	s_waitcnt lgkmcnt(0)
	v_fma_f16 v87, v50, -0.5, v60
	v_sub_f16_sdwa v88, v4, v8 dst_sel:DWORD dst_unused:UNUSED_PAD src0_sel:WORD_1 src1_sel:WORD_1
	v_fma_f16 v50, v88, s4, v87
	v_sub_f16_sdwa v89, v10, v6 dst_sel:DWORD dst_unused:UNUSED_PAD src0_sel:WORD_1 src1_sel:WORD_1
	v_fma_f16 v50, v89, s0, v50
	v_fma_f16 v90, v55, s6, v50
	v_add_f16_sdwa v50, v10, v6 dst_sel:DWORD dst_unused:UNUSED_PAD src0_sel:WORD_1 src1_sel:WORD_1
	v_lshrrev_b32_e32 v91, 16, v60
	v_fma_f16 v92, v50, -0.5, v91
	v_sub_f16_e32 v93, v4, v8
	v_fma_f16 v50, v93, s5, v92
	v_sub_f16_e32 v94, v10, v6
	v_fma_f16 v50, v94, s1, v50
	v_fma_f16 v85, v62, s0, v63
	;; [unrolled: 1-line block ×3, first 2 shown]
	v_add_f16_e32 v50, v90, v85
	v_add_f16_e32 v62, v95, v86
	v_pack_b32_f16 v96, v50, v62
	v_mul_u32_u24_e32 v50, 10, v12
	v_lshl_add_u32 v97, v50, 2, 0
	v_pk_add_f16 v50, v60, v4
	v_pk_add_f16 v50, v50, v10
	;; [unrolled: 1-line block ×8, first 2 shown]
	v_add_u32_e32 v50, 0x400, v56
	ds_read2_b32 v[62:63], v50 offset0:128 offset1:224
	v_add_u32_e32 v50, 0xe00, v56
	v_pk_add_f16 v100, v98, v99
	v_add_u32_e32 v65, 0x1800, v56
	v_add_u32_e32 v69, 0x2000, v56
	;; [unrolled: 1-line block ×3, first 2 shown]
	ds_read2_b32 v[67:68], v50 offset0:64 offset1:160
	ds_read2_b32 v[70:71], v65 offset1:96
	ds_read2_b32 v[72:73], v69 offset0:64 offset1:160
	ds_read2_b32 v[74:75], v64 offset0:128 offset1:224
	s_waitcnt lgkmcnt(0)
	s_barrier
	ds_write2_b32 v97, v100, v96 offset1:1
	v_sub_f16_e32 v96, v6, v8
	v_sub_f16_e32 v100, v10, v4
	v_add_f16_e32 v96, v100, v96
	v_add_f16_e32 v100, v4, v8
	v_fma_f16 v60, v100, -0.5, v60
	v_fma_f16 v100, v89, s5, v60
	v_fma_f16 v60, v89, s4, v60
	;; [unrolled: 1-line block ×6, first 2 shown]
	v_add_f16_sdwa v96, v4, v8 dst_sel:DWORD dst_unused:UNUSED_PAD src0_sel:WORD_1 src1_sel:WORD_1
	v_fma_f16 v91, v96, -0.5, v91
	v_sub_f16_sdwa v4, v10, v4 dst_sel:DWORD dst_unused:UNUSED_PAD src0_sel:WORD_1 src1_sel:WORD_1
	v_sub_f16_sdwa v6, v6, v8 dst_sel:DWORD dst_unused:UNUSED_PAD src0_sel:WORD_1 src1_sel:WORD_1
	v_add_f16_e32 v4, v4, v6
	v_fma_f16 v6, v94, s4, v91
	v_fma_f16 v8, v94, s5, v91
	v_fma_f16 v6, v93, s1, v6
	v_fma_f16 v8, v93, s0, v8
	v_fma_f16 v6, v4, s6, v6
	v_fma_f16 v4, v4, s6, v8
	v_sub_f16_e32 v8, v48, v52
	v_sub_f16_e32 v10, v3, v1
	v_add_f16_e32 v8, v10, v8
	v_add_f16_e32 v10, v1, v52
	v_fma_f16 v10, v10, -0.5, v54
	v_fma_f16 v54, v80, s5, v10
	v_fma_f16 v10, v80, s4, v10
	;; [unrolled: 1-line block ×6, first 2 shown]
	v_add_f16_sdwa v10, v1, v52 dst_sel:DWORD dst_unused:UNUSED_PAD src0_sel:WORD_1 src1_sel:WORD_1
	v_fma_f16 v10, v10, -0.5, v81
	v_sub_f16_sdwa v1, v3, v1 dst_sel:DWORD dst_unused:UNUSED_PAD src0_sel:WORD_1 src1_sel:WORD_1
	v_sub_f16_sdwa v3, v48, v52 dst_sel:DWORD dst_unused:UNUSED_PAD src0_sel:WORD_1 src1_sel:WORD_1
	v_add_f16_e32 v1, v1, v3
	v_fma_f16 v3, v84, s4, v10
	v_fma_f16 v3, v83, s1, v3
	;; [unrolled: 1-line block ×5, first 2 shown]
	v_mul_f16_e32 v48, 0xbb9c, v54
	v_fma_f16 v1, v1, s6, v10
	v_mul_f16_e32 v10, 0x3b9c, v3
	v_fma_f16 v3, v3, s6, v48
	v_mul_f16_e32 v48, 0x34f2, v8
	v_fma_f16 v48, v1, s4, -v48
	v_mul_f16_e32 v1, 0x34f2, v1
	v_fma_f16 v1, v8, s5, -v1
	v_fma_f16 v10, v54, s6, v10
	v_add_f16_e32 v8, v60, v48
	v_add_f16_e32 v52, v4, v1
	v_pack_b32_f16 v8, v8, v52
	v_add_f16_e32 v52, v100, v10
	v_add_f16_e32 v54, v6, v3
	v_pack_b32_f16 v52, v52, v54
	v_fma_f16 v49, v79, s5, v49
	ds_write2_b32 v97, v52, v8 offset0:2 offset1:3
	v_fma_f16 v8, v88, s5, v87
	v_fma_f16 v49, v80, s1, v49
	;; [unrolled: 1-line block ×9, first 2 shown]
	v_mul_f16_e32 v55, 0x3a79, v49
	v_fma_f16 v52, v94, s0, v52
	v_fma_f16 v55, v54, s0, -v55
	v_mul_f16_e32 v54, 0x3a79, v54
	v_fma_f16 v52, v76, s6, v52
	v_fma_f16 v49, v49, s1, -v54
	v_add_f16_e32 v76, v8, v55
	v_add_f16_e32 v77, v52, v49
	v_pk_add_f16 v54, v98, v99 neg_lo:[0,1] neg_hi:[0,1]
	v_pack_b32_f16 v76, v76, v77
	ds_write2_b32 v97, v76, v54 offset0:4 offset1:5
	v_sub_f16_e32 v54, v90, v85
	v_sub_f16_e32 v10, v100, v10
	;; [unrolled: 1-line block ×4, first 2 shown]
	v_pack_b32_f16 v6, v54, v76
	v_pack_b32_f16 v3, v10, v3
	ds_write2_b32 v97, v6, v3 offset0:6 offset1:7
	v_sub_f16_e32 v3, v60, v48
	v_sub_f16_e32 v6, v8, v55
	;; [unrolled: 1-line block ×4, first 2 shown]
	v_pack_b32_f16 v4, v6, v4
	v_pack_b32_f16 v1, v3, v1
	ds_write2_b32 v97, v1, v4 offset0:8 offset1:9
	v_pk_add_f16 v1, v53, v0
	v_pk_add_f16 v1, v1, v2
	;; [unrolled: 1-line block ×3, first 2 shown]
	v_add_f16_e32 v3, v2, v47
	v_sub_f16_sdwa v4, v2, v47 dst_sel:DWORD dst_unused:UNUSED_PAD src0_sel:WORD_1 src1_sel:WORD_1
	v_sub_f16_e32 v6, v0, v2
	v_sub_f16_e32 v8, v2, v0
	v_add_f16_sdwa v10, v2, v47 dst_sel:DWORD dst_unused:UNUSED_PAD src0_sel:WORD_1 src1_sel:WORD_1
	v_sub_f16_e32 v48, v2, v47
	v_sub_f16_sdwa v49, v0, v2 dst_sel:DWORD dst_unused:UNUSED_PAD src0_sel:WORD_1 src1_sel:WORD_1
	v_sub_f16_sdwa v2, v2, v0 dst_sel:DWORD dst_unused:UNUSED_PAD src0_sel:WORD_1 src1_sel:WORD_1
	;; [unrolled: 1-line block ×3, first 2 shown]
	v_add_f16_e32 v54, v0, v51
	v_sub_f16_e32 v55, v0, v51
	v_add_f16_sdwa v0, v0, v51 dst_sel:DWORD dst_unused:UNUSED_PAD src0_sel:WORD_1 src1_sel:WORD_1
	v_sub_f16_e32 v60, v51, v47
	v_sub_f16_e32 v76, v47, v51
	v_sub_f16_sdwa v77, v51, v47 dst_sel:DWORD dst_unused:UNUSED_PAD src0_sel:WORD_1 src1_sel:WORD_1
	v_sub_f16_sdwa v47, v47, v51 dst_sel:DWORD dst_unused:UNUSED_PAD src0_sel:WORD_1 src1_sel:WORD_1
	v_pk_add_f16 v1, v1, v51
	v_pk_add_f16 v51, v61, v5
	;; [unrolled: 1-line block ×4, first 2 shown]
	v_add_f16_e32 v78, v11, v7
	v_sub_f16_sdwa v79, v11, v7 dst_sel:DWORD dst_unused:UNUSED_PAD src0_sel:WORD_1 src1_sel:WORD_1
	v_sub_f16_e32 v80, v5, v11
	v_sub_f16_e32 v81, v11, v5
	v_add_f16_sdwa v82, v11, v7 dst_sel:DWORD dst_unused:UNUSED_PAD src0_sel:WORD_1 src1_sel:WORD_1
	v_sub_f16_e32 v83, v11, v7
	v_sub_f16_sdwa v84, v5, v11 dst_sel:DWORD dst_unused:UNUSED_PAD src0_sel:WORD_1 src1_sel:WORD_1
	v_sub_f16_sdwa v11, v11, v5 dst_sel:DWORD dst_unused:UNUSED_PAD src0_sel:WORD_1 src1_sel:WORD_1
	;; [unrolled: 1-line block ×3, first 2 shown]
	v_add_f16_e32 v86, v5, v9
	v_sub_f16_e32 v87, v5, v9
	v_add_f16_sdwa v5, v5, v9 dst_sel:DWORD dst_unused:UNUSED_PAD src0_sel:WORD_1 src1_sel:WORD_1
	v_sub_f16_e32 v88, v9, v7
	v_sub_f16_e32 v89, v7, v9
	v_sub_f16_sdwa v90, v9, v7 dst_sel:DWORD dst_unused:UNUSED_PAD src0_sel:WORD_1 src1_sel:WORD_1
	v_sub_f16_sdwa v7, v7, v9 dst_sel:DWORD dst_unused:UNUSED_PAD src0_sel:WORD_1 src1_sel:WORD_1
	v_pk_add_f16 v9, v51, v9
	v_pk_add_f16 v51, v63, v68
	;; [unrolled: 1-line block ×6, first 2 shown]
	v_add_f16_e32 v92, v71, v73
	v_sub_f16_sdwa v93, v71, v73 dst_sel:DWORD dst_unused:UNUSED_PAD src0_sel:WORD_1 src1_sel:WORD_1
	v_sub_f16_e32 v94, v68, v71
	v_sub_f16_e32 v95, v71, v68
	v_add_f16_sdwa v96, v71, v73 dst_sel:DWORD dst_unused:UNUSED_PAD src0_sel:WORD_1 src1_sel:WORD_1
	v_sub_f16_e32 v97, v71, v73
	v_sub_f16_sdwa v98, v68, v71 dst_sel:DWORD dst_unused:UNUSED_PAD src0_sel:WORD_1 src1_sel:WORD_1
	v_sub_f16_sdwa v71, v71, v68 dst_sel:DWORD dst_unused:UNUSED_PAD src0_sel:WORD_1 src1_sel:WORD_1
	;; [unrolled: 1-line block ×3, first 2 shown]
	v_add_f16_e32 v107, v68, v75
	v_sub_f16_e32 v108, v68, v75
	v_add_f16_sdwa v68, v68, v75 dst_sel:DWORD dst_unused:UNUSED_PAD src0_sel:WORD_1 src1_sel:WORD_1
	v_sub_f16_e32 v112, v75, v73
	v_sub_f16_e32 v113, v73, v75
	v_sub_f16_sdwa v114, v75, v73 dst_sel:DWORD dst_unused:UNUSED_PAD src0_sel:WORD_1 src1_sel:WORD_1
	v_sub_f16_sdwa v73, v73, v75 dst_sel:DWORD dst_unused:UNUSED_PAD src0_sel:WORD_1 src1_sel:WORD_1
	v_pk_add_f16 v51, v51, v75
	v_add_f16_e32 v75, v80, v88
	v_fma_f16 v80, v86, -0.5, v61
	v_lshrrev_b32_e32 v86, 16, v61
	v_add_f16_e32 v99, v70, v72
	v_add_f16_e32 v110, v67, v74
	v_pk_add_f16 v91, v91, v72
	v_add_f16_e32 v81, v81, v89
	v_fma_f16 v89, v79, s5, v80
	v_fma_f16 v80, v79, s4, v80
	v_fma_f16 v5, v5, -0.5, v86
	v_sub_f16_sdwa v100, v70, v72 dst_sel:DWORD dst_unused:UNUSED_PAD src0_sel:WORD_1 src1_sel:WORD_1
	v_sub_f16_e32 v101, v67, v70
	v_sub_f16_e32 v102, v70, v67
	v_add_f16_sdwa v103, v70, v72 dst_sel:DWORD dst_unused:UNUSED_PAD src0_sel:WORD_1 src1_sel:WORD_1
	v_sub_f16_e32 v104, v70, v72
	v_sub_f16_sdwa v105, v67, v70 dst_sel:DWORD dst_unused:UNUSED_PAD src0_sel:WORD_1 src1_sel:WORD_1
	v_sub_f16_sdwa v70, v70, v67 dst_sel:DWORD dst_unused:UNUSED_PAD src0_sel:WORD_1 src1_sel:WORD_1
	;; [unrolled: 1-line block ×3, first 2 shown]
	v_sub_f16_e32 v111, v67, v74
	v_add_f16_sdwa v67, v67, v74 dst_sel:DWORD dst_unused:UNUSED_PAD src0_sel:WORD_1 src1_sel:WORD_1
	v_sub_f16_e32 v115, v74, v72
	v_sub_f16_e32 v116, v72, v74
	v_sub_f16_sdwa v117, v74, v72 dst_sel:DWORD dst_unused:UNUSED_PAD src0_sel:WORD_1 src1_sel:WORD_1
	v_sub_f16_sdwa v72, v72, v74 dst_sel:DWORD dst_unused:UNUSED_PAD src0_sel:WORD_1 src1_sel:WORD_1
	v_pk_add_f16 v74, v91, v74
	v_fma_f16 v91, v99, -0.5, v62
	v_lshrrev_b32_e32 v99, 16, v62
	v_fma_f16 v89, v85, s0, v89
	v_fma_f16 v80, v85, s1, v80
	v_add_f16_e32 v7, v11, v7
	v_fma_f16 v11, v83, s4, v5
	v_fma_f16 v5, v83, s5, v5
	v_fma_f16 v62, v110, -0.5, v62
	v_fma_f16 v78, v78, -0.5, v61
	v_add_f16_e32 v88, v101, v115
	v_fma_f16 v61, v109, s4, v91
	v_fma_f16 v101, v103, -0.5, v99
	v_fma_f16 v89, v81, s6, v89
	v_fma_f16 v80, v81, s6, v80
	;; [unrolled: 1-line block ×10, first 2 shown]
	v_add_f16_e32 v7, v102, v116
	v_fma_f16 v81, v109, s0, v81
	v_fma_f16 v62, v109, s1, v62
	v_add_f16_e32 v84, v84, v90
	v_add_f16_e32 v90, v105, v117
	v_fma_f16 v61, v88, s6, v61
	v_fma_f16 v103, v104, s1, v103
	v_fma_f16 v81, v7, s6, v81
	v_fma_f16 v7, v7, s6, v62
	v_fma_f16 v62, v67, -0.5, v99
	v_fma_f16 v103, v90, s6, v103
	v_mul_f16_e32 v105, 0x3a79, v61
	v_mul_f16_e32 v61, 0xb8b4, v61
	v_add_f16_e32 v67, v70, v72
	v_fma_f16 v70, v104, s4, v62
	v_fma_f16 v105, v103, s0, v105
	;; [unrolled: 1-line block ×7, first 2 shown]
	v_fma_f16 v82, v82, -0.5, v86
	v_fma_f16 v70, v67, s6, v70
	v_fma_f16 v62, v111, s0, v62
	v_mul_f16_e32 v72, 0xbb9c, v81
	v_fma_f16 v115, v75, s6, v61
	v_fma_f16 v61, v87, s5, v82
	;; [unrolled: 1-line block ×3, first 2 shown]
	v_mul_f16_e32 v67, 0x3b9c, v70
	v_fma_f16 v70, v70, s6, v72
	v_mul_f16_e32 v72, 0x34f2, v7
	v_fma_f16 v61, v83, s1, v61
	v_fma_f16 v72, v62, s4, -v72
	v_mul_f16_e32 v62, 0x34f2, v62
	v_fma_f16 v117, v84, s6, v61
	v_fma_f16 v7, v7, s5, -v62
	v_add_f16_e32 v61, v115, v105
	v_add_f16_e32 v118, v117, v103
	v_fma_f16 v67, v81, s6, v67
	v_add_f16_e32 v62, v80, v72
	v_add_f16_e32 v81, v5, v7
	v_pack_b32_f16 v118, v61, v118
	v_mul_i32_i24_e32 v61, 10, v18
	v_pack_b32_f16 v62, v62, v81
	v_add_f16_e32 v81, v89, v67
	v_add_f16_e32 v86, v11, v70
	v_lshl_add_u32 v61, v61, 2, 0
	v_pack_b32_f16 v81, v81, v86
	ds_write2_b32 v61, v81, v62 offset0:2 offset1:3
	v_fma_f16 v62, v85, s5, v78
	v_fma_f16 v78, v109, s5, v91
	;; [unrolled: 1-line block ×10, first 2 shown]
	v_mul_f16_e32 v81, 0x3a79, v78
	v_fma_f16 v75, v83, s0, v75
	v_fma_f16 v81, v79, s0, -v81
	v_mul_f16_e32 v79, 0x3a79, v79
	v_fma_f16 v75, v84, s6, v75
	v_fma_f16 v78, v78, s1, -v79
	v_pk_add_f16 v119, v9, v74
	v_pk_add_f16 v9, v9, v74 neg_lo:[0,1] neg_hi:[0,1]
	v_add_f16_e32 v74, v62, v81
	v_add_f16_e32 v79, v75, v78
	v_pack_b32_f16 v74, v74, v79
	ds_write2_b32 v61, v74, v9 offset0:4 offset1:5
	v_sub_f16_e32 v9, v115, v105
	v_sub_f16_e32 v67, v89, v67
	;; [unrolled: 1-line block ×4, first 2 shown]
	v_pack_b32_f16 v9, v9, v74
	v_pack_b32_f16 v11, v67, v11
	ds_write2_b32 v61, v9, v11 offset0:6 offset1:7
	v_sub_f16_e32 v9, v80, v72
	v_sub_f16_e32 v11, v62, v81
	;; [unrolled: 1-line block ×4, first 2 shown]
	v_pack_b32_f16 v7, v11, v7
	v_pack_b32_f16 v5, v9, v5
	ds_write2_b32 v61, v5, v7 offset0:8 offset1:9
	v_add_f16_e32 v5, v6, v60
	v_fma_f16 v6, v54, -0.5, v53
	v_add_f16_e32 v9, v49, v77
	v_fma_f16 v49, v92, -0.5, v63
	v_lshrrev_b32_e32 v54, 16, v63
	v_fma_f16 v3, v3, -0.5, v53
	v_lshrrev_b32_e32 v7, 16, v53
	v_fma_f16 v53, v107, -0.5, v63
	v_fma_f16 v62, v106, s4, v49
	v_fma_f16 v63, v96, -0.5, v54
	v_add_f16_e32 v11, v94, v112
	v_fma_f16 v62, v93, s0, v62
	v_fma_f16 v67, v108, s5, v63
	v_add_f16_e32 v60, v98, v114
	v_fma_f16 v62, v11, s6, v62
	v_fma_f16 v67, v97, s1, v67
	v_fma_f16 v67, v60, s6, v67
	v_mul_f16_e32 v70, 0x3a79, v62
	v_mul_f16_e32 v62, 0xb8b4, v62
	v_fma_f16 v0, v0, -0.5, v7
	v_fma_f16 v70, v67, s0, v70
	v_fma_f16 v67, v67, s7, v62
	;; [unrolled: 1-line block ×3, first 2 shown]
	v_fma_f16 v10, v10, -0.5, v7
	v_fma_f16 v3, v52, s5, v3
	v_fma_f16 v7, v48, s4, v0
	;; [unrolled: 1-line block ×5, first 2 shown]
	v_add_f16_e32 v2, v2, v47
	v_fma_f16 v7, v55, s1, v7
	v_fma_f16 v0, v55, s0, v0
	;; [unrolled: 1-line block ×4, first 2 shown]
	v_add_f16_e32 v5, v8, v76
	v_fma_f16 v8, v4, s5, v6
	v_fma_f16 v4, v4, s4, v6
	v_fma_f16 v7, v2, s6, v7
	v_fma_f16 v0, v2, s6, v0
	v_fma_f16 v2, v106, s5, v49
	v_fma_f16 v6, v52, s0, v8
	v_fma_f16 v4, v52, s1, v4
	v_fma_f16 v2, v93, s1, v2
	v_fma_f16 v62, v55, s5, v10
	v_fma_f16 v6, v5, s6, v6
	v_fma_f16 v4, v5, s6, v4
	v_fma_f16 v5, v55, s4, v10
	v_fma_f16 v2, v11, s6, v2
	v_fma_f16 v11, v68, -0.5, v54
	v_fma_f16 v62, v48, s1, v62
	v_fma_f16 v5, v48, s0, v5
	;; [unrolled: 1-line block ×6, first 2 shown]
	v_add_f16_e32 v47, v71, v73
	v_fma_f16 v11, v97, s5, v11
	v_fma_f16 v48, v108, s1, v48
	v_add_f16_e32 v8, v95, v113
	v_fma_f16 v10, v93, s4, v53
	v_fma_f16 v9, v106, s0, v9
	;; [unrolled: 1-line block ×7, first 2 shown]
	v_mul_f16_e32 v47, 0x3b9c, v48
	v_fma_f16 v8, v8, s6, v10
	v_fma_f16 v47, v9, s6, v47
	v_mul_f16_e32 v9, 0xbb9c, v9
	v_fma_f16 v10, v108, s4, v63
	v_fma_f16 v9, v48, s6, v9
	v_mul_f16_e32 v48, 0x34f2, v8
	v_fma_f16 v10, v97, s0, v10
	v_fma_f16 v48, v11, s4, -v48
	v_mul_f16_e32 v11, 0x34f2, v11
	v_fma_f16 v10, v60, s6, v10
	v_fma_f16 v8, v8, s5, -v11
	v_mul_f16_e32 v11, 0x3a79, v2
	v_add_f16_e32 v62, v72, v70
	v_add_f16_e32 v75, v74, v67
	v_fma_f16 v11, v10, s0, -v11
	v_mul_f16_e32 v10, 0x3a79, v10
	v_pack_b32_f16 v75, v62, v75
	v_mul_i32_i24_e32 v62, 10, v16
	v_fma_f16 v2, v2, s1, -v10
	v_add_f16_e32 v49, v6, v47
	v_sub_f16_e32 v6, v6, v47
	v_add_f16_e32 v47, v4, v48
	v_add_f16_e32 v52, v7, v9
	v_sub_f16_e32 v7, v7, v9
	v_add_f16_e32 v9, v0, v8
	v_lshl_add_u32 v62, v62, 2, 0
	v_sub_f16_e32 v4, v4, v48
	v_add_f16_e32 v48, v3, v11
	v_sub_f16_e32 v0, v0, v8
	v_add_f16_e32 v8, v5, v2
	v_sub_f16_e32 v2, v5, v2
	v_pack_b32_f16 v5, v47, v9
	v_pack_b32_f16 v9, v49, v52
	ds_write2_b32 v61, v119, v118 offset1:1
	v_pk_add_f16 v77, v1, v51
	v_sub_f16_e32 v10, v72, v70
	v_sub_f16_e32 v3, v3, v11
	;; [unrolled: 1-line block ×3, first 2 shown]
	ds_write2_b32 v62, v9, v5 offset0:2 offset1:3
	v_pk_add_f16 v1, v1, v51 neg_lo:[0,1] neg_hi:[0,1]
	v_pack_b32_f16 v5, v48, v8
	ds_write2_b32 v62, v5, v1 offset0:4 offset1:5
	v_pack_b32_f16 v1, v10, v11
	v_pack_b32_f16 v5, v6, v7
	ds_write2_b32 v62, v1, v5 offset0:6 offset1:7
	v_pack_b32_f16 v1, v3, v2
	v_pack_b32_f16 v0, v4, v0
	s_movk_i32 s0, 0xcd
	ds_write2_b32 v62, v0, v1 offset0:8 offset1:9
	v_mul_lo_u16_sdwa v0, v12, s0 dst_sel:DWORD dst_unused:UNUSED_PAD src0_sel:BYTE_0 src1_sel:DWORD
	v_lshrrev_b16_e32 v48, 11, v0
	v_mul_lo_u16_e32 v0, 10, v48
	v_sub_u16_e32 v54, v12, v0
	v_mov_b32_e32 v47, 5
	v_mul_u32_u24_sdwa v0, v54, v47 dst_sel:DWORD dst_unused:UNUSED_PAD src0_sel:BYTE_0 src1_sel:DWORD
	v_lshlrev_b32_e32 v49, 2, v0
	ds_write2_b32 v62, v77, v75 offset1:1
	s_waitcnt lgkmcnt(0)
	s_barrier
	global_load_dwordx4 v[0:3], v49, s[8:9]
	v_mul_lo_u16_sdwa v4, v18, s0 dst_sel:DWORD dst_unused:UNUSED_PAD src0_sel:BYTE_0 src1_sel:DWORD
	v_lshrrev_b16_e32 v52, 11, v4
	v_mul_lo_u16_e32 v4, 10, v52
	v_sub_u16_e32 v53, v18, v4
	v_mul_u32_u24_sdwa v4, v53, v47 dst_sel:DWORD dst_unused:UNUSED_PAD src0_sel:BYTE_0 src1_sel:DWORD
	v_lshlrev_b32_e32 v51, 2, v4
	global_load_dwordx4 v[4:7], v51, s[8:9]
	s_mov_b32 s0, 0xcccd
	v_mul_u32_u24_sdwa v8, v16, s0 dst_sel:DWORD dst_unused:UNUSED_PAD src0_sel:WORD_0 src1_sel:DWORD
	v_lshrrev_b32_e32 v55, 19, v8
	v_mul_lo_u16_e32 v8, 10, v55
	v_sub_u16_e32 v72, v16, v8
	v_mul_u32_u24_e32 v8, 5, v72
	v_lshlrev_b32_e32 v83, 2, v8
	global_load_dwordx4 v[8:11], v83, s[8:9]
	v_mul_u32_u24_sdwa v73, v42, s0 dst_sel:DWORD dst_unused:UNUSED_PAD src0_sel:WORD_0 src1_sel:DWORD
	v_lshrrev_b32_e32 v89, 19, v73
	v_lshl_add_u32 v63, v38, 2, 0
	v_mul_lo_u16_e32 v73, 10, v89
	v_lshl_add_u32 v60, v24, 2, 0
	v_lshl_add_u32 v68, v42, 2, 0
	;; [unrolled: 1-line block ×3, first 2 shown]
	ds_read_b32 v77, v63
	ds_read_b32 v78, v60
	ds_read_b32 v84, v68
	ds_read_b32 v85, v67
	v_sub_u16_e32 v90, v42, v73
	s_movk_i32 s1, 0xffdc
	v_mul_u32_u24_e32 v73, 5, v90
	v_mad_i32_i24 v70, v16, s1, v62
	s_waitcnt lgkmcnt(3)
	v_lshrrev_b32_e32 v79, 16, v77
	v_lshlrev_b32_e32 v91, 2, v73
	v_mad_i32_i24 v71, v18, s1, v61
	ds_read_b32 v86, v70
	ds_read_b32 v87, v71
	global_load_dword v88, v49, s[8:9] offset:16
	global_load_dword v102, v51, s[8:9] offset:16
	global_load_dwordx4 v[73:76], v91, s[8:9]
	ds_read2_b32 v[81:82], v44 offset0:64 offset1:160
	global_load_dword v83, v83, s[8:9] offset:16
	s_mov_b32 s4, 0xbaee
	s_movk_i32 s5, 0x3aee
	v_mul_u32_u24_e32 v52, 0xf0, v52
	v_mul_u32_u24_e32 v55, 0xf0, v55
	v_lshlrev_b32_e32 v72, 2, v72
	v_add3_u32 v55, 0, v55, v72
	v_lshlrev_b64 v[38:39], 2, v[38:39]
	s_add_u32 s6, s8, 0x2cd8
	s_addc_u32 s7, s9, 0
	s_waitcnt vmcnt(6)
	v_mul_f16_sdwa v49, v0, v79 dst_sel:DWORD dst_unused:UNUSED_PAD src0_sel:WORD_1 src1_sel:DWORD
	v_fma_f16 v92, v0, v77, -v49
	v_mul_f16_sdwa v49, v0, v77 dst_sel:DWORD dst_unused:UNUSED_PAD src0_sel:WORD_1 src1_sel:DWORD
	v_fma_f16 v93, v0, v79, v49
	s_waitcnt lgkmcnt(5)
	v_lshrrev_b32_e32 v0, 16, v78
	v_mul_f16_sdwa v49, v0, v1 dst_sel:DWORD dst_unused:UNUSED_PAD src0_sel:DWORD src1_sel:WORD_1
	v_fma_f16 v94, v78, v1, -v49
	v_mul_f16_sdwa v49, v78, v1 dst_sel:DWORD dst_unused:UNUSED_PAD src0_sel:DWORD src1_sel:WORD_1
	v_fma_f16 v95, v0, v1, v49
	s_waitcnt lgkmcnt(0)
	v_lshrrev_b32_e32 v49, 16, v82
	v_mul_f16_sdwa v77, v82, v2 dst_sel:DWORD dst_unused:UNUSED_PAD src0_sel:DWORD src1_sel:WORD_1
	v_fma_f16 v96, v49, v2, v77
	v_mul_f16_sdwa v49, v49, v2 dst_sel:DWORD dst_unused:UNUSED_PAD src0_sel:DWORD src1_sel:WORD_1
	v_fma_f16 v82, v82, v2, -v49
	v_mul_u32_u24_sdwa v2, v40, s0 dst_sel:DWORD dst_unused:UNUSED_PAD src0_sel:WORD_0 src1_sel:DWORD
	v_lshrrev_b32_e32 v97, 19, v2
	v_mul_lo_u16_e32 v2, 10, v97
	v_sub_u16_e32 v98, v40, v2
	v_mul_u32_u24_e32 v2, 5, v98
	v_lshlrev_b32_e32 v99, 2, v2
	global_load_dwordx4 v[77:80], v99, s[8:9]
	ds_read2_b32 v[0:1], v58 offset0:128 offset1:224
	v_cmp_gt_u32_e64 s[0:1], 60, v12
	s_waitcnt lgkmcnt(0)
	v_lshrrev_b32_e32 v2, 16, v0
	v_mul_f16_sdwa v49, v0, v3 dst_sel:DWORD dst_unused:UNUSED_PAD src0_sel:DWORD src1_sel:WORD_1
	v_fma_f16 v100, v2, v3, v49
	v_mul_f16_sdwa v2, v2, v3 dst_sel:DWORD dst_unused:UNUSED_PAD src0_sel:DWORD src1_sel:WORD_1
	v_fma_f16 v101, v0, v3, -v2
	ds_read2st64_b32 v[2:3], v56 offset1:9
	v_lshrrev_b32_e32 v0, 16, v1
	s_waitcnt vmcnt(6)
	v_mul_f16_sdwa v49, v0, v7 dst_sel:DWORD dst_unused:UNUSED_PAD src0_sel:DWORD src1_sel:WORD_1
	v_fma_f16 v103, v1, v7, -v49
	v_mul_f16_sdwa v1, v1, v7 dst_sel:DWORD dst_unused:UNUSED_PAD src0_sel:DWORD src1_sel:WORD_1
	v_add_u32_e32 v49, 0x80, v56
	v_fma_f16 v104, v0, v7, v1
	s_waitcnt lgkmcnt(0)
	v_lshrrev_b32_e32 v7, 16, v3
	ds_read2st64_b32 v[0:1], v49 offset0:13 offset1:16
	v_mul_f16_sdwa v51, v3, v4 dst_sel:DWORD dst_unused:UNUSED_PAD src0_sel:DWORD src1_sel:WORD_1
	v_fma_f16 v105, v7, v4, v51
	v_mul_f16_sdwa v7, v7, v4 dst_sel:DWORD dst_unused:UNUSED_PAD src0_sel:DWORD src1_sel:WORD_1
	v_fma_f16 v106, v3, v4, -v7
	ds_read2_b32 v[3:4], v65 offset1:96
	s_waitcnt lgkmcnt(1)
	v_lshrrev_b32_e32 v7, 16, v1
	v_mul_f16_sdwa v51, v1, v5 dst_sel:DWORD dst_unused:UNUSED_PAD src0_sel:DWORD src1_sel:WORD_1
	v_fma_f16 v107, v7, v5, v51
	v_mul_f16_sdwa v7, v7, v5 dst_sel:DWORD dst_unused:UNUSED_PAD src0_sel:DWORD src1_sel:WORD_1
	v_fma_f16 v108, v1, v5, -v7
	s_waitcnt lgkmcnt(0)
	v_lshrrev_b32_e32 v1, 16, v3
	v_mul_f16_sdwa v5, v3, v6 dst_sel:DWORD dst_unused:UNUSED_PAD src0_sel:DWORD src1_sel:WORD_1
	v_fma_f16 v109, v1, v6, v5
	v_mul_f16_sdwa v1, v1, v6 dst_sel:DWORD dst_unused:UNUSED_PAD src0_sel:DWORD src1_sel:WORD_1
	v_add_u32_e32 v51, 0xa00, v56
	v_fma_f16 v110, v3, v6, -v1
	ds_read2_b32 v[5:6], v51 offset0:32 offset1:128
	v_lshrrev_b32_e32 v1, 16, v4
	s_waitcnt vmcnt(5)
	v_mul_f16_sdwa v3, v1, v10 dst_sel:DWORD dst_unused:UNUSED_PAD src0_sel:DWORD src1_sel:WORD_1
	v_fma_f16 v111, v4, v10, -v3
	v_mul_f16_sdwa v3, v4, v10 dst_sel:DWORD dst_unused:UNUSED_PAD src0_sel:DWORD src1_sel:WORD_1
	v_fma_f16 v10, v1, v10, v3
	s_waitcnt lgkmcnt(0)
	v_lshrrev_b32_e32 v1, 16, v5
	ds_read2_b32 v[3:4], v46 offset0:128 offset1:224
	v_mul_f16_sdwa v7, v5, v8 dst_sel:DWORD dst_unused:UNUSED_PAD src0_sel:DWORD src1_sel:WORD_1
	v_fma_f16 v112, v1, v8, v7
	v_mul_f16_sdwa v1, v1, v8 dst_sel:DWORD dst_unused:UNUSED_PAD src0_sel:DWORD src1_sel:WORD_1
	v_fma_f16 v5, v5, v8, -v1
	ds_read2_b32 v[7:8], v69 offset0:64 offset1:160
	s_waitcnt lgkmcnt(1)
	v_lshrrev_b32_e32 v1, 16, v3
	v_mul_f16_sdwa v113, v3, v9 dst_sel:DWORD dst_unused:UNUSED_PAD src0_sel:DWORD src1_sel:WORD_1
	v_fma_f16 v113, v1, v9, v113
	v_mul_f16_sdwa v1, v1, v9 dst_sel:DWORD dst_unused:UNUSED_PAD src0_sel:DWORD src1_sel:WORD_1
	v_fma_f16 v9, v3, v9, -v1
	s_waitcnt lgkmcnt(0)
	v_lshrrev_b32_e32 v1, 16, v7
	v_mul_f16_sdwa v3, v7, v11 dst_sel:DWORD dst_unused:UNUSED_PAD src0_sel:DWORD src1_sel:WORD_1
	v_fma_f16 v114, v1, v11, v3
	v_mul_f16_sdwa v1, v1, v11 dst_sel:DWORD dst_unused:UNUSED_PAD src0_sel:DWORD src1_sel:WORD_1
	v_fma_f16 v7, v7, v11, -v1
	global_load_dword v11, v91, s[8:9] offset:16
	v_lshrrev_b32_e32 v1, 16, v6
	s_waitcnt vmcnt(3)
	v_mul_f16_sdwa v3, v1, v73 dst_sel:DWORD dst_unused:UNUSED_PAD src0_sel:DWORD src1_sel:WORD_1
	v_fma_f16 v91, v6, v73, -v3
	v_mul_f16_sdwa v3, v6, v73 dst_sel:DWORD dst_unused:UNUSED_PAD src0_sel:DWORD src1_sel:WORD_1
	v_fma_f16 v6, v1, v73, v3
	v_lshrrev_b32_e32 v1, 16, v4
	v_mul_f16_sdwa v3, v1, v74 dst_sel:DWORD dst_unused:UNUSED_PAD src0_sel:DWORD src1_sel:WORD_1
	v_fma_f16 v73, v4, v74, -v3
	v_mul_f16_sdwa v3, v4, v74 dst_sel:DWORD dst_unused:UNUSED_PAD src0_sel:DWORD src1_sel:WORD_1
	v_fma_f16 v74, v1, v74, v3
	ds_read2_b32 v[3:4], v45 offset0:64 offset1:160
	v_lshrrev_b32_e32 v1, 16, v8
	v_mul_f16_sdwa v115, v1, v76 dst_sel:DWORD dst_unused:UNUSED_PAD src0_sel:DWORD src1_sel:WORD_1
	v_fma_f16 v115, v8, v76, -v115
	v_mul_f16_sdwa v8, v8, v76 dst_sel:DWORD dst_unused:UNUSED_PAD src0_sel:DWORD src1_sel:WORD_1
	v_fma_f16 v8, v1, v76, v8
	s_waitcnt lgkmcnt(0)
	v_lshrrev_b32_e32 v1, 16, v3
	v_mul_f16_sdwa v76, v3, v75 dst_sel:DWORD dst_unused:UNUSED_PAD src0_sel:DWORD src1_sel:WORD_1
	v_fma_f16 v76, v1, v75, v76
	v_mul_f16_sdwa v1, v1, v75 dst_sel:DWORD dst_unused:UNUSED_PAD src0_sel:DWORD src1_sel:WORD_1
	v_fma_f16 v75, v3, v75, -v1
	v_lshrrev_b32_e32 v1, 16, v0
	s_waitcnt vmcnt(1)
	v_mul_f16_sdwa v3, v1, v77 dst_sel:DWORD dst_unused:UNUSED_PAD src0_sel:DWORD src1_sel:WORD_1
	v_fma_f16 v116, v0, v77, -v3
	v_mul_f16_sdwa v0, v0, v77 dst_sel:DWORD dst_unused:UNUSED_PAD src0_sel:DWORD src1_sel:WORD_1
	v_fma_f16 v77, v1, v77, v0
	v_lshrrev_b32_e32 v0, 16, v81
	v_mul_f16_sdwa v1, v0, v78 dst_sel:DWORD dst_unused:UNUSED_PAD src0_sel:DWORD src1_sel:WORD_1
	v_fma_f16 v117, v81, v78, -v1
	v_mul_f16_sdwa v1, v81, v78 dst_sel:DWORD dst_unused:UNUSED_PAD src0_sel:DWORD src1_sel:WORD_1
	global_load_dword v99, v99, s[8:9] offset:16
	v_fma_f16 v78, v0, v78, v1
	ds_read2_b32 v[0:1], v59 offset1:96
	v_lshrrev_b32_e32 v3, 16, v4
	v_mul_f16_sdwa v81, v3, v79 dst_sel:DWORD dst_unused:UNUSED_PAD src0_sel:DWORD src1_sel:WORD_1
	v_fma_f16 v81, v4, v79, -v81
	v_mul_f16_sdwa v4, v4, v79 dst_sel:DWORD dst_unused:UNUSED_PAD src0_sel:DWORD src1_sel:WORD_1
	v_fma_f16 v4, v3, v79, v4
	s_waitcnt lgkmcnt(0)
	v_lshrrev_b32_e32 v3, 16, v0
	v_mul_f16_sdwa v79, v0, v80 dst_sel:DWORD dst_unused:UNUSED_PAD src0_sel:DWORD src1_sel:WORD_1
	v_fma_f16 v79, v3, v80, v79
	v_mul_f16_sdwa v3, v3, v80 dst_sel:DWORD dst_unused:UNUSED_PAD src0_sel:DWORD src1_sel:WORD_1
	v_fma_f16 v80, v0, v80, -v3
	v_lshrrev_b32_e32 v0, 16, v1
	v_mul_f16_sdwa v3, v0, v88 dst_sel:DWORD dst_unused:UNUSED_PAD src0_sel:DWORD src1_sel:WORD_1
	v_fma_f16 v3, v1, v88, -v3
	v_mul_f16_sdwa v1, v1, v88 dst_sel:DWORD dst_unused:UNUSED_PAD src0_sel:DWORD src1_sel:WORD_1
	v_fma_f16 v0, v0, v88, v1
	v_add_f16_e32 v1, v94, v101
	v_fma_f16 v88, v1, -0.5, v2
	v_lshrrev_b32_e32 v1, 16, v2
	v_add_f16_e32 v118, v1, v95
	v_sub_f16_e32 v119, v95, v100
	v_add_f16_e32 v95, v95, v100
	v_add_f16_e32 v2, v2, v94
	v_fma_f16 v95, v95, -0.5, v1
	v_add_f16_e32 v1, v93, v96
	v_add_f16_e32 v118, v118, v100
	;; [unrolled: 1-line block ×3, first 2 shown]
	v_sub_f16_e32 v94, v94, v101
	v_add_f16_e32 v101, v1, v0
	v_sub_f16_e32 v120, v96, v0
	v_add_f16_e32 v0, v96, v0
	v_fma_f16 v93, v0, -0.5, v93
	v_add_f16_e32 v0, v82, v3
	v_fma_f16 v96, v0, -0.5, v92
	v_add_f16_e32 v0, v92, v82
	v_sub_f16_e32 v82, v82, v3
	v_fma_f16 v1, v82, s4, v93
	v_add_f16_e32 v92, v0, v3
	v_fma_f16 v0, v120, s5, v96
	v_mul_f16_e32 v2, 0x3aee, v1
	v_fma_f16 v121, v0, 0.5, v2
	v_mul_f16_e32 v0, 0xbaee, v0
	v_fma_f16 v122, v1, 0.5, v0
	v_mul_u32_u24_e32 v0, 0xf0, v48
	v_mov_b32_e32 v48, 2
	v_fma_f16 v125, v94, s4, v95
	v_fma_f16 v94, v94, s5, v95
	;; [unrolled: 1-line block ×3, first 2 shown]
	v_lshlrev_b32_sdwa v1, v48, v54 dst_sel:DWORD dst_unused:UNUSED_PAD src0_sel:DWORD src1_sel:BYTE_0
	v_fma_f16 v82, v82, s5, v93
	v_mul_f16_e32 v93, -0.5, v95
	v_add3_u32 v54, 0, v0, v1
	v_add_f16_e32 v0, v100, v92
	v_add_f16_e32 v1, v118, v101
	v_fma_f16 v124, v119, s5, v88
	v_fma_f16 v93, v82, s5, v93
	v_mul_f16_e32 v82, -0.5, v82
	v_pack_b32_f16 v123, v0, v1
	v_add_f16_e32 v0, v124, v121
	v_add_f16_e32 v1, v125, v122
	v_fma_f16 v88, v119, s4, v88
	v_fma_f16 v82, v95, s4, v82
	v_pack_b32_f16 v126, v0, v1
	ds_read2_b32 v[0:1], v66 offset0:64 offset1:160
	ds_read2_b32 v[2:3], v64 offset0:128 offset1:224
	v_sub_f16_e32 v92, v100, v92
	v_sub_f16_e32 v95, v118, v101
	v_add_f16_e32 v96, v88, v93
	v_add_f16_e32 v100, v94, v82
	v_pack_b32_f16 v96, v96, v100
	v_pack_b32_f16 v92, v92, v95
	s_waitcnt vmcnt(0) lgkmcnt(0)
	s_barrier
	ds_write2_b32 v54, v96, v92 offset0:20 offset1:30
	v_sub_f16_e32 v92, v124, v121
	v_sub_f16_e32 v88, v88, v93
	;; [unrolled: 1-line block ×4, first 2 shown]
	v_pack_b32_f16 v92, v92, v93
	v_pack_b32_f16 v82, v88, v82
	ds_write2_b32 v54, v123, v126 offset1:10
	ds_write2_b32 v54, v92, v82 offset0:40 offset1:50
	v_lshrrev_b32_e32 v54, 16, v0
	v_mul_f16_sdwa v82, v0, v102 dst_sel:DWORD dst_unused:UNUSED_PAD src0_sel:DWORD src1_sel:WORD_1
	v_fma_f16 v82, v54, v102, v82
	v_mul_f16_sdwa v54, v54, v102 dst_sel:DWORD dst_unused:UNUSED_PAD src0_sel:DWORD src1_sel:WORD_1
	v_fma_f16 v0, v0, v102, -v54
	v_lshrrev_b32_e32 v54, 16, v87
	v_add_f16_e32 v93, v107, v104
	v_add_f16_e32 v95, v105, v109
	;; [unrolled: 1-line block ×3, first 2 shown]
	v_fma_f16 v54, v93, -0.5, v54
	v_add_f16_e32 v93, v108, v103
	v_add_f16_e32 v95, v95, v82
	v_sub_f16_e32 v96, v109, v82
	v_add_f16_e32 v82, v109, v82
	v_add_f16_e32 v101, v106, v110
	v_fma_f16 v93, v93, -0.5, v87
	v_add_f16_e32 v87, v87, v108
	v_fma_f16 v82, v82, -0.5, v105
	v_add_f16_e32 v100, v110, v0
	v_add_f16_e32 v101, v101, v0
	v_sub_f16_e32 v0, v110, v0
	v_add_f16_e32 v87, v87, v103
	v_sub_f16_e32 v94, v108, v103
	v_fma_f16 v100, v100, -0.5, v106
	v_fma_f16 v103, v0, s4, v82
	v_add_f16_e32 v88, v88, v104
	v_sub_f16_e32 v92, v107, v104
	v_fma_f16 v102, v96, s5, v100
	v_mul_f16_e32 v104, 0x3aee, v103
	v_fma_f16 v104, v102, 0.5, v104
	v_mul_f16_e32 v102, 0xbaee, v102
	v_lshlrev_b32_sdwa v53, v48, v53 dst_sel:DWORD dst_unused:UNUSED_PAD src0_sel:DWORD src1_sel:BYTE_0
	v_fma_f16 v102, v103, 0.5, v102
	v_add3_u32 v52, 0, v52, v53
	v_add_f16_e32 v53, v87, v101
	v_add_f16_e32 v103, v88, v95
	v_pack_b32_f16 v53, v53, v103
	v_fma_f16 v103, v92, s5, v93
	v_fma_f16 v105, v94, s4, v54
	v_add_f16_e32 v106, v103, v104
	v_add_f16_e32 v107, v105, v102
	v_pack_b32_f16 v106, v106, v107
	ds_write2_b32 v52, v53, v106 offset1:10
	v_fma_f16 v53, v92, s4, v93
	v_fma_f16 v92, v96, s4, v100
	;; [unrolled: 1-line block ×3, first 2 shown]
	v_mul_f16_e32 v82, -0.5, v92
	v_fma_f16 v82, v0, s5, v82
	v_mul_f16_e32 v0, -0.5, v0
	v_fma_f16 v54, v94, s5, v54
	v_fma_f16 v0, v92, s4, v0
	v_sub_f16_e32 v87, v87, v101
	v_sub_f16_e32 v88, v88, v95
	v_add_f16_e32 v92, v53, v82
	v_add_f16_e32 v93, v54, v0
	v_pack_b32_f16 v92, v92, v93
	v_pack_b32_f16 v87, v87, v88
	ds_write2_b32 v52, v92, v87 offset0:20 offset1:30
	v_sub_f16_e32 v87, v103, v104
	v_sub_f16_e32 v53, v53, v82
	;; [unrolled: 1-line block ×4, first 2 shown]
	v_pack_b32_f16 v54, v87, v82
	v_pack_b32_f16 v0, v53, v0
	ds_write2_b32 v52, v54, v0 offset0:40 offset1:50
	v_lshrrev_b32_e32 v0, 16, v1
	v_mul_f16_sdwa v52, v0, v83 dst_sel:DWORD dst_unused:UNUSED_PAD src0_sel:DWORD src1_sel:WORD_1
	v_fma_f16 v52, v1, v83, -v52
	v_mul_f16_sdwa v1, v1, v83 dst_sel:DWORD dst_unused:UNUSED_PAD src0_sel:DWORD src1_sel:WORD_1
	v_fma_f16 v0, v0, v83, v1
	v_lshrrev_b32_e32 v1, 16, v86
	v_add_f16_e32 v82, v113, v114
	v_add_f16_e32 v83, v86, v9
	;; [unrolled: 1-line block ×3, first 2 shown]
	v_fma_f16 v1, v82, -0.5, v1
	v_add_f16_e32 v82, v9, v7
	v_add_f16_e32 v83, v83, v7
	v_sub_f16_e32 v7, v9, v7
	v_add_f16_e32 v9, v112, v10
	v_fma_f16 v82, v82, -0.5, v86
	v_add_f16_e32 v9, v9, v0
	v_sub_f16_e32 v86, v10, v0
	v_add_f16_e32 v0, v10, v0
	v_add_f16_e32 v10, v111, v52
	v_fma_f16 v10, v10, -0.5, v5
	v_add_f16_e32 v5, v5, v111
	v_fma_f16 v0, v0, -0.5, v112
	v_add_f16_e32 v5, v5, v52
	v_sub_f16_e32 v52, v111, v52
	v_fma_f16 v88, v52, s4, v0
	v_fma_f16 v87, v86, s5, v10
	v_mul_f16_e32 v92, 0x3aee, v88
	v_fma_f16 v93, v7, s4, v1
	v_fma_f16 v1, v7, s5, v1
	;; [unrolled: 1-line block ×3, first 2 shown]
	v_add_f16_e32 v53, v53, v114
	v_fma_f16 v92, v87, 0.5, v92
	v_mul_f16_e32 v87, 0xbaee, v87
	v_fma_f16 v0, v52, s5, v0
	v_mul_f16_e32 v10, -0.5, v7
	v_sub_f16_e32 v54, v113, v114
	v_fma_f16 v87, v88, 0.5, v87
	v_add_f16_e32 v72, v83, v5
	v_add_f16_e32 v88, v53, v9
	v_fma_f16 v10, v0, s5, v10
	v_mul_f16_e32 v0, -0.5, v0
	v_pack_b32_f16 v72, v72, v88
	v_fma_f16 v88, v54, s5, v82
	v_fma_f16 v54, v54, s4, v82
	;; [unrolled: 1-line block ×3, first 2 shown]
	v_sub_f16_e32 v5, v83, v5
	v_sub_f16_e32 v7, v53, v9
	v_add_f16_e32 v9, v54, v10
	v_add_f16_e32 v52, v1, v0
	v_pack_b32_f16 v9, v9, v52
	v_pack_b32_f16 v5, v5, v7
	ds_write2_b32 v55, v9, v5 offset0:20 offset1:30
	v_sub_f16_e32 v5, v88, v92
	v_sub_f16_e32 v7, v54, v10
	;; [unrolled: 1-line block ×4, first 2 shown]
	v_pack_b32_f16 v1, v5, v9
	v_pack_b32_f16 v0, v7, v0
	ds_write2_b32 v55, v1, v0 offset0:40 offset1:50
	v_lshrrev_b32_e32 v0, 16, v2
	v_mul_f16_sdwa v1, v2, v11 dst_sel:DWORD dst_unused:UNUSED_PAD src0_sel:DWORD src1_sel:WORD_1
	v_fma_f16 v1, v0, v11, v1
	v_mul_f16_sdwa v0, v0, v11 dst_sel:DWORD dst_unused:UNUSED_PAD src0_sel:DWORD src1_sel:WORD_1
	v_fma_f16 v0, v2, v11, -v0
	v_add_f16_e32 v11, v6, v76
	v_add_f16_e32 v94, v88, v92
	;; [unrolled: 1-line block ×4, first 2 shown]
	v_sub_f16_e32 v52, v76, v1
	v_add_f16_e32 v1, v76, v1
	v_add_f16_e32 v53, v91, v75
	v_pack_b32_f16 v94, v94, v95
	v_fma_f16 v1, v1, -0.5, v6
	v_add_f16_e32 v6, v75, v0
	v_add_f16_e32 v53, v53, v0
	v_sub_f16_e32 v0, v75, v0
	ds_write2_b32 v55, v72, v94 offset1:10
	v_lshrrev_b32_e32 v2, 16, v84
	v_fma_f16 v6, v6, -0.5, v91
	v_fma_f16 v55, v0, s4, v1
	v_add_f16_e32 v5, v2, v74
	v_fma_f16 v54, v52, s5, v6
	v_mul_f16_e32 v72, 0x3aee, v55
	v_add_f16_e32 v5, v5, v8
	v_sub_f16_e32 v7, v74, v8
	v_add_f16_e32 v8, v74, v8
	v_add_f16_e32 v9, v84, v73
	v_fma_f16 v72, v54, 0.5, v72
	v_mul_f16_e32 v54, 0xbaee, v54
	v_fma_f16 v6, v52, s4, v6
	v_fma_f16 v2, v8, -0.5, v2
	v_add_f16_e32 v8, v73, v115
	v_add_f16_e32 v9, v9, v115
	v_sub_f16_e32 v10, v73, v115
	v_fma_f16 v54, v55, 0.5, v54
	v_mul_u32_u24_e32 v55, 0xf0, v89
	v_lshlrev_b32_e32 v73, 2, v90
	v_fma_f16 v0, v0, s5, v1
	v_mul_f16_e32 v1, -0.5, v6
	v_fma_f16 v8, v8, -0.5, v84
	v_add3_u32 v55, 0, v55, v73
	v_add_f16_e32 v73, v9, v53
	v_add_f16_e32 v74, v5, v11
	v_fma_f16 v1, v0, s5, v1
	v_mul_f16_e32 v0, -0.5, v0
	v_pack_b32_f16 v73, v73, v74
	v_fma_f16 v74, v7, s5, v8
	v_fma_f16 v75, v10, s4, v2
	;; [unrolled: 1-line block ×5, first 2 shown]
	v_sub_f16_e32 v6, v9, v53
	v_sub_f16_e32 v5, v5, v11
	v_add_f16_e32 v8, v7, v1
	v_add_f16_e32 v9, v2, v0
	v_pack_b32_f16 v8, v8, v9
	v_pack_b32_f16 v5, v6, v5
	ds_write2_b32 v55, v8, v5 offset0:20 offset1:30
	v_sub_f16_e32 v5, v74, v72
	v_sub_f16_e32 v1, v7, v1
	;; [unrolled: 1-line block ×4, first 2 shown]
	v_pack_b32_f16 v2, v5, v6
	v_pack_b32_f16 v0, v1, v0
	ds_write2_b32 v55, v2, v0 offset0:40 offset1:50
	v_lshrrev_b32_e32 v0, 16, v3
	v_mul_f16_sdwa v2, v3, v99 dst_sel:DWORD dst_unused:UNUSED_PAD src0_sel:DWORD src1_sel:WORD_1
	v_mul_f16_sdwa v1, v0, v99 dst_sel:DWORD dst_unused:UNUSED_PAD src0_sel:DWORD src1_sel:WORD_1
	v_fma_f16 v0, v0, v99, v2
	v_add_f16_e32 v9, v77, v4
	v_fma_f16 v1, v3, v99, -v1
	v_add_f16_e32 v9, v9, v0
	v_sub_f16_e32 v10, v4, v0
	v_add_f16_e32 v0, v4, v0
	v_add_f16_e32 v11, v116, v81
	v_fma_f16 v0, v0, -0.5, v77
	v_add_f16_e32 v4, v81, v1
	v_add_f16_e32 v11, v11, v1
	v_sub_f16_e32 v1, v81, v1
	v_fma_f16 v4, v4, -0.5, v116
	v_fma_f16 v53, v1, s4, v0
	v_add_f16_e32 v76, v74, v72
	v_add_f16_e32 v82, v75, v54
	v_lshrrev_b32_e32 v2, 16, v85
	v_fma_f16 v52, v10, s5, v4
	v_mul_f16_e32 v54, 0x3aee, v53
	v_pack_b32_f16 v76, v76, v82
	v_add_f16_e32 v3, v2, v78
	v_add_f16_e32 v6, v78, v79
	;; [unrolled: 1-line block ×3, first 2 shown]
	v_fma_f16 v54, v52, 0.5, v54
	v_mul_f16_e32 v52, 0xbaee, v52
	v_fma_f16 v4, v10, s4, v4
	ds_write2_b32 v55, v73, v76 offset1:10
	v_add_f16_e32 v3, v3, v79
	v_fma_f16 v2, v6, -0.5, v2
	v_add_f16_e32 v6, v117, v80
	v_add_f16_e32 v7, v7, v80
	v_fma_f16 v52, v53, 0.5, v52
	v_mul_u32_u24_e32 v53, 0xf0, v97
	v_lshlrev_b32_e32 v55, 2, v98
	v_fma_f16 v0, v1, s5, v0
	v_mul_f16_e32 v1, -0.5, v4
	v_sub_f16_e32 v5, v78, v79
	v_fma_f16 v6, v6, -0.5, v85
	v_sub_f16_e32 v8, v117, v80
	v_add3_u32 v53, 0, v53, v55
	v_add_f16_e32 v55, v7, v11
	v_add_f16_e32 v72, v3, v9
	v_fma_f16 v1, v0, s5, v1
	v_mul_f16_e32 v0, -0.5, v0
	v_pack_b32_f16 v55, v55, v72
	v_fma_f16 v72, v5, s5, v6
	v_fma_f16 v73, v8, s4, v2
	;; [unrolled: 1-line block ×5, first 2 shown]
	v_sub_f16_e32 v4, v7, v11
	v_sub_f16_e32 v3, v3, v9
	v_add_f16_e32 v6, v5, v1
	v_add_f16_e32 v7, v2, v0
	v_pack_b32_f16 v6, v6, v7
	v_pack_b32_f16 v3, v4, v3
	ds_write2_b32 v53, v6, v3 offset0:20 offset1:30
	v_sub_f16_e32 v3, v72, v54
	v_sub_f16_e32 v1, v5, v1
	;; [unrolled: 1-line block ×4, first 2 shown]
	v_add_f16_e32 v74, v72, v54
	v_add_f16_e32 v75, v73, v52
	v_pack_b32_f16 v2, v3, v4
	v_pack_b32_f16 v0, v1, v0
	v_pack_b32_f16 v74, v74, v75
	ds_write2_b32 v53, v2, v0 offset0:40 offset1:50
	v_subrev_u32_e32 v0, 60, v12
	ds_write2_b32 v53, v55, v74 offset1:10
	v_cndmask_b32_e64 v53, v0, v12, s[0:1]
	v_mul_i32_i24_e32 v7, 5, v53
	v_mov_b32_e32 v8, 0
	v_lshlrev_b64 v[0:1], 2, v[7:8]
	v_mov_b32_e32 v11, s9
	v_add_co_u32_e64 v9, s[0:1], s8, v0
	v_addc_co_u32_e64 v10, s[0:1], v11, v1, s[0:1]
	s_waitcnt lgkmcnt(0)
	s_barrier
	global_load_dwordx4 v[0:3], v[9:10], off offset:200
	s_movk_i32 s0, 0x89
	v_mul_lo_u16_sdwa v4, v18, s0 dst_sel:DWORD dst_unused:UNUSED_PAD src0_sel:BYTE_0 src1_sel:DWORD
	v_lshrrev_b16_e32 v54, 13, v4
	v_mul_lo_u16_e32 v4, 60, v54
	v_sub_u16_e32 v55, v18, v4
	v_mul_u32_u24_sdwa v4, v55, v47 dst_sel:DWORD dst_unused:UNUSED_PAD src0_sel:BYTE_0 src1_sel:DWORD
	v_lshlrev_b32_e32 v72, 2, v4
	global_load_dwordx4 v[4:7], v72, s[8:9] offset:200
	s_mov_b32 s0, 0x8889
	v_mul_u32_u24_sdwa v47, v16, s0 dst_sel:DWORD dst_unused:UNUSED_PAD src0_sel:WORD_0 src1_sel:DWORD
	v_lshrrev_b32_e32 v47, 21, v47
	v_mul_lo_u16_e32 v52, 60, v47
	v_sub_u16_e32 v52, v16, v52
	v_mul_u32_u24_e32 v73, 5, v52
	v_lshlrev_b32_e32 v85, 2, v73
	global_load_dwordx4 v[73:76], v85, s[8:9] offset:200
	v_mul_u32_u24_sdwa v77, v42, s0 dst_sel:DWORD dst_unused:UNUSED_PAD src0_sel:WORD_0 src1_sel:DWORD
	v_lshrrev_b32_e32 v90, 21, v77
	v_mul_lo_u16_e32 v77, 60, v90
	v_sub_u16_e32 v91, v42, v77
	v_mul_u32_u24_e32 v77, 5, v91
	ds_read_b32 v81, v63
	ds_read_b32 v82, v60
	;; [unrolled: 1-line block ×6, first 2 shown]
	s_waitcnt lgkmcnt(5)
	v_lshrrev_b32_e32 v83, 16, v81
	v_lshlrev_b32_e32 v92, 2, v77
	global_load_dwordx4 v[77:80], v92, s[8:9] offset:200
	global_load_dword v93, v[9:10], off offset:216
	global_load_dword v103, v72, s[8:9] offset:216
	v_lshlrev_b32_sdwa v48, v48, v55 dst_sel:DWORD dst_unused:UNUSED_PAD src0_sel:DWORD src1_sel:BYTE_0
	global_load_dword v85, v85, s[8:9] offset:216
	v_mul_u32_u24_e32 v54, 0x5a0, v54
	v_add3_u32 v48, 0, v54, v48
	v_mul_u32_u24_e32 v47, 0x5a0, v47
	v_lshlrev_b32_e32 v52, 2, v52
	v_add3_u32 v47, 0, v47, v52
	s_waitcnt vmcnt(6)
	v_mul_f16_sdwa v9, v0, v83 dst_sel:DWORD dst_unused:UNUSED_PAD src0_sel:WORD_1 src1_sel:DWORD
	v_fma_f16 v94, v0, v81, -v9
	v_mul_f16_sdwa v9, v0, v81 dst_sel:DWORD dst_unused:UNUSED_PAD src0_sel:WORD_1 src1_sel:DWORD
	v_fma_f16 v95, v0, v83, v9
	ds_read2_b32 v[9:10], v44 offset0:64 offset1:160
	s_waitcnt lgkmcnt(5)
	v_lshrrev_b32_e32 v0, 16, v82
	v_mul_f16_sdwa v81, v1, v82 dst_sel:DWORD dst_unused:UNUSED_PAD src0_sel:WORD_1 src1_sel:DWORD
	v_fma_f16 v96, v1, v0, v81
	v_mul_f16_sdwa v44, v1, v0 dst_sel:DWORD dst_unused:UNUSED_PAD src0_sel:WORD_1 src1_sel:DWORD
	s_waitcnt lgkmcnt(0)
	v_lshrrev_b32_e32 v97, 16, v10
	v_mul_f16_sdwa v81, v2, v10 dst_sel:DWORD dst_unused:UNUSED_PAD src0_sel:WORD_1 src1_sel:DWORD
	v_fma_f16 v98, v2, v97, v81
	v_mul_u32_u24_sdwa v81, v40, s0 dst_sel:DWORD dst_unused:UNUSED_PAD src0_sel:WORD_0 src1_sel:DWORD
	v_lshrrev_b32_e32 v99, 21, v81
	v_mul_lo_u16_e32 v81, 60, v99
	v_sub_u16_e32 v100, v40, v81
	v_mul_u32_u24_e32 v81, 5, v100
	v_lshlrev_b32_e32 v101, 2, v81
	v_fma_f16 v44, v1, v82, -v44
	global_load_dwordx4 v[81:84], v101, s[8:9] offset:200
	ds_read2_b32 v[0:1], v58 offset0:128 offset1:224
	v_mul_f16_sdwa v97, v2, v97 dst_sel:DWORD dst_unused:UNUSED_PAD src0_sel:WORD_1 src1_sel:DWORD
	v_fma_f16 v10, v2, v10, -v97
	global_load_dword v101, v101, s[8:9] offset:216
	v_cmp_lt_u32_e64 s[0:1], 59, v12
	s_waitcnt lgkmcnt(0)
	v_lshrrev_b32_e32 v2, 16, v0
	v_mul_f16_sdwa v97, v0, v3 dst_sel:DWORD dst_unused:UNUSED_PAD src0_sel:DWORD src1_sel:WORD_1
	v_fma_f16 v97, v2, v3, v97
	v_mul_f16_sdwa v2, v2, v3 dst_sel:DWORD dst_unused:UNUSED_PAD src0_sel:DWORD src1_sel:WORD_1
	v_fma_f16 v102, v0, v3, -v2
	ds_read2st64_b32 v[2:3], v56 offset1:9
	v_lshrrev_b32_e32 v0, 16, v1
	s_waitcnt vmcnt(7)
	v_mul_f16_sdwa v72, v0, v7 dst_sel:DWORD dst_unused:UNUSED_PAD src0_sel:DWORD src1_sel:WORD_1
	v_fma_f16 v104, v1, v7, -v72
	v_mul_f16_sdwa v1, v1, v7 dst_sel:DWORD dst_unused:UNUSED_PAD src0_sel:DWORD src1_sel:WORD_1
	v_fma_f16 v7, v0, v7, v1
	s_waitcnt lgkmcnt(0)
	v_lshrrev_b32_e32 v72, 16, v3
	ds_read2st64_b32 v[0:1], v49 offset0:13 offset1:16
	v_mul_f16_sdwa v49, v3, v4 dst_sel:DWORD dst_unused:UNUSED_PAD src0_sel:DWORD src1_sel:WORD_1
	v_fma_f16 v49, v72, v4, v49
	v_mul_f16_sdwa v72, v72, v4 dst_sel:DWORD dst_unused:UNUSED_PAD src0_sel:DWORD src1_sel:WORD_1
	v_fma_f16 v105, v3, v4, -v72
	ds_read2_b32 v[3:4], v65 offset1:96
	s_waitcnt lgkmcnt(1)
	v_lshrrev_b32_e32 v72, 16, v1
	v_mul_f16_sdwa v106, v1, v5 dst_sel:DWORD dst_unused:UNUSED_PAD src0_sel:DWORD src1_sel:WORD_1
	v_fma_f16 v106, v72, v5, v106
	v_mul_f16_sdwa v72, v72, v5 dst_sel:DWORD dst_unused:UNUSED_PAD src0_sel:DWORD src1_sel:WORD_1
	v_fma_f16 v107, v1, v5, -v72
	s_waitcnt lgkmcnt(0)
	v_lshrrev_b32_e32 v1, 16, v3
	v_mul_f16_sdwa v5, v3, v6 dst_sel:DWORD dst_unused:UNUSED_PAD src0_sel:DWORD src1_sel:WORD_1
	v_fma_f16 v108, v1, v6, v5
	v_mul_f16_sdwa v1, v1, v6 dst_sel:DWORD dst_unused:UNUSED_PAD src0_sel:DWORD src1_sel:WORD_1
	v_fma_f16 v109, v3, v6, -v1
	ds_read2_b32 v[5:6], v51 offset0:32 offset1:128
	v_lshrrev_b32_e32 v1, 16, v4
	s_waitcnt vmcnt(6)
	v_mul_f16_sdwa v3, v1, v75 dst_sel:DWORD dst_unused:UNUSED_PAD src0_sel:DWORD src1_sel:WORD_1
	v_fma_f16 v110, v4, v75, -v3
	v_mul_f16_sdwa v3, v4, v75 dst_sel:DWORD dst_unused:UNUSED_PAD src0_sel:DWORD src1_sel:WORD_1
	v_fma_f16 v75, v1, v75, v3
	s_waitcnt lgkmcnt(0)
	v_lshrrev_b32_e32 v1, 16, v5
	ds_read2_b32 v[3:4], v46 offset0:128 offset1:224
	v_mul_f16_sdwa v46, v5, v73 dst_sel:DWORD dst_unused:UNUSED_PAD src0_sel:DWORD src1_sel:WORD_1
	v_fma_f16 v46, v1, v73, v46
	v_mul_f16_sdwa v1, v1, v73 dst_sel:DWORD dst_unused:UNUSED_PAD src0_sel:DWORD src1_sel:WORD_1
	v_fma_f16 v5, v5, v73, -v1
	ds_read2_b32 v[72:73], v69 offset0:64 offset1:160
	s_waitcnt lgkmcnt(1)
	v_lshrrev_b32_e32 v1, 16, v3
	v_mul_f16_sdwa v111, v3, v74 dst_sel:DWORD dst_unused:UNUSED_PAD src0_sel:DWORD src1_sel:WORD_1
	v_fma_f16 v111, v1, v74, v111
	v_mul_f16_sdwa v1, v1, v74 dst_sel:DWORD dst_unused:UNUSED_PAD src0_sel:DWORD src1_sel:WORD_1
	v_fma_f16 v74, v3, v74, -v1
	s_waitcnt lgkmcnt(0)
	v_lshrrev_b32_e32 v1, 16, v72
	v_mul_f16_sdwa v3, v72, v76 dst_sel:DWORD dst_unused:UNUSED_PAD src0_sel:DWORD src1_sel:WORD_1
	v_fma_f16 v112, v1, v76, v3
	v_mul_f16_sdwa v1, v1, v76 dst_sel:DWORD dst_unused:UNUSED_PAD src0_sel:DWORD src1_sel:WORD_1
	v_fma_f16 v72, v72, v76, -v1
	v_lshrrev_b32_e32 v1, 16, v6
	global_load_dword v76, v92, s[8:9] offset:216
	s_waitcnt vmcnt(6)
	v_mul_f16_sdwa v3, v1, v77 dst_sel:DWORD dst_unused:UNUSED_PAD src0_sel:DWORD src1_sel:WORD_1
	v_fma_f16 v92, v6, v77, -v3
	v_mul_f16_sdwa v3, v6, v77 dst_sel:DWORD dst_unused:UNUSED_PAD src0_sel:DWORD src1_sel:WORD_1
	v_fma_f16 v6, v1, v77, v3
	v_lshrrev_b32_e32 v1, 16, v4
	v_mul_f16_sdwa v3, v1, v78 dst_sel:DWORD dst_unused:UNUSED_PAD src0_sel:DWORD src1_sel:WORD_1
	v_fma_f16 v77, v4, v78, -v3
	v_mul_f16_sdwa v3, v4, v78 dst_sel:DWORD dst_unused:UNUSED_PAD src0_sel:DWORD src1_sel:WORD_1
	v_fma_f16 v78, v1, v78, v3
	ds_read2_b32 v[3:4], v45 offset0:64 offset1:160
	v_lshrrev_b32_e32 v1, 16, v73
	v_mul_f16_sdwa v45, v1, v80 dst_sel:DWORD dst_unused:UNUSED_PAD src0_sel:DWORD src1_sel:WORD_1
	v_fma_f16 v45, v73, v80, -v45
	v_mul_f16_sdwa v73, v73, v80 dst_sel:DWORD dst_unused:UNUSED_PAD src0_sel:DWORD src1_sel:WORD_1
	v_fma_f16 v73, v1, v80, v73
	s_waitcnt lgkmcnt(0)
	v_lshrrev_b32_e32 v1, 16, v3
	v_mul_f16_sdwa v80, v3, v79 dst_sel:DWORD dst_unused:UNUSED_PAD src0_sel:DWORD src1_sel:WORD_1
	v_fma_f16 v80, v1, v79, v80
	v_mul_f16_sdwa v1, v1, v79 dst_sel:DWORD dst_unused:UNUSED_PAD src0_sel:DWORD src1_sel:WORD_1
	v_fma_f16 v79, v3, v79, -v1
	v_lshrrev_b32_e32 v1, 16, v0
	s_waitcnt vmcnt(2)
	v_mul_f16_sdwa v3, v1, v81 dst_sel:DWORD dst_unused:UNUSED_PAD src0_sel:DWORD src1_sel:WORD_1
	v_fma_f16 v113, v0, v81, -v3
	v_mul_f16_sdwa v0, v0, v81 dst_sel:DWORD dst_unused:UNUSED_PAD src0_sel:DWORD src1_sel:WORD_1
	v_fma_f16 v81, v1, v81, v0
	v_lshrrev_b32_e32 v0, 16, v9
	v_mul_f16_sdwa v1, v0, v82 dst_sel:DWORD dst_unused:UNUSED_PAD src0_sel:DWORD src1_sel:WORD_1
	v_fma_f16 v114, v9, v82, -v1
	v_mul_f16_sdwa v1, v9, v82 dst_sel:DWORD dst_unused:UNUSED_PAD src0_sel:DWORD src1_sel:WORD_1
	v_fma_f16 v9, v0, v82, v1
	ds_read2_b32 v[0:1], v59 offset1:96
	v_lshrrev_b32_e32 v3, 16, v4
	v_mul_f16_sdwa v82, v3, v83 dst_sel:DWORD dst_unused:UNUSED_PAD src0_sel:DWORD src1_sel:WORD_1
	v_fma_f16 v82, v4, v83, -v82
	v_mul_f16_sdwa v4, v4, v83 dst_sel:DWORD dst_unused:UNUSED_PAD src0_sel:DWORD src1_sel:WORD_1
	v_fma_f16 v4, v3, v83, v4
	s_waitcnt lgkmcnt(0)
	v_lshrrev_b32_e32 v3, 16, v0
	v_mul_f16_sdwa v83, v0, v84 dst_sel:DWORD dst_unused:UNUSED_PAD src0_sel:DWORD src1_sel:WORD_1
	v_fma_f16 v83, v3, v84, v83
	v_mul_f16_sdwa v3, v3, v84 dst_sel:DWORD dst_unused:UNUSED_PAD src0_sel:DWORD src1_sel:WORD_1
	v_fma_f16 v84, v0, v84, -v3
	v_lshrrev_b32_e32 v0, 16, v1
	v_mul_f16_sdwa v3, v0, v93 dst_sel:DWORD dst_unused:UNUSED_PAD src0_sel:DWORD src1_sel:WORD_1
	v_fma_f16 v3, v1, v93, -v3
	v_mul_f16_sdwa v1, v1, v93 dst_sel:DWORD dst_unused:UNUSED_PAD src0_sel:DWORD src1_sel:WORD_1
	v_fma_f16 v0, v0, v93, v1
	v_add_f16_e32 v1, v44, v102
	v_fma_f16 v93, v1, -0.5, v2
	v_lshrrev_b32_e32 v1, 16, v2
	v_add_f16_e32 v115, v1, v96
	v_sub_f16_e32 v116, v96, v97
	v_add_f16_e32 v96, v96, v97
	v_add_f16_e32 v2, v2, v44
	v_fma_f16 v96, v96, -0.5, v1
	v_add_f16_e32 v1, v95, v98
	v_add_f16_e32 v115, v115, v97
	;; [unrolled: 1-line block ×3, first 2 shown]
	v_sub_f16_e32 v44, v44, v102
	v_add_f16_e32 v102, v1, v0
	v_sub_f16_e32 v117, v98, v0
	v_add_f16_e32 v0, v98, v0
	v_fma_f16 v95, v0, -0.5, v95
	v_add_f16_e32 v0, v10, v3
	v_fma_f16 v98, v0, -0.5, v94
	v_add_f16_e32 v0, v94, v10
	v_sub_f16_e32 v10, v10, v3
	v_fma_f16 v1, v10, s4, v95
	v_add_f16_e32 v94, v0, v3
	v_fma_f16 v0, v117, s5, v98
	v_mul_f16_e32 v2, 0x3aee, v1
	v_fma_f16 v118, v0, 0.5, v2
	v_mul_f16_e32 v0, 0xbaee, v0
	v_fma_f16 v119, v1, 0.5, v0
	v_mov_b32_e32 v0, 0x5a0
	v_fma_f16 v122, v44, s4, v96
	v_fma_f16 v44, v44, s5, v96
	;; [unrolled: 1-line block ×3, first 2 shown]
	v_cndmask_b32_e64 v0, 0, v0, s[0:1]
	v_lshlrev_b32_e32 v1, 2, v53
	v_fma_f16 v10, v10, s5, v95
	v_mul_f16_e32 v95, -0.5, v96
	v_add3_u32 v53, 0, v0, v1
	v_add_f16_e32 v0, v97, v94
	v_add_f16_e32 v1, v115, v102
	v_fma_f16 v121, v116, s5, v93
	v_fma_f16 v95, v10, s5, v95
	v_mul_f16_e32 v10, -0.5, v10
	v_pack_b32_f16 v120, v0, v1
	v_add_f16_e32 v0, v121, v118
	v_add_f16_e32 v1, v122, v119
	v_fma_f16 v93, v116, s4, v93
	v_fma_f16 v10, v96, s4, v10
	v_pack_b32_f16 v123, v0, v1
	ds_read2_b32 v[0:1], v66 offset0:64 offset1:160
	ds_read2_b32 v[2:3], v64 offset0:128 offset1:224
	v_sub_f16_e32 v94, v97, v94
	v_sub_f16_e32 v96, v115, v102
	v_add_f16_e32 v97, v93, v95
	v_add_f16_e32 v98, v44, v10
	v_pack_b32_f16 v97, v97, v98
	v_pack_b32_f16 v94, v94, v96
	s_waitcnt vmcnt(0) lgkmcnt(0)
	s_barrier
	ds_write2_b32 v53, v97, v94 offset0:120 offset1:180
	v_sub_f16_e32 v94, v121, v118
	v_sub_f16_e32 v93, v93, v95
	;; [unrolled: 1-line block ×4, first 2 shown]
	ds_write2_b32 v53, v120, v123 offset1:60
	v_pack_b32_f16 v44, v94, v95
	v_pack_b32_f16 v10, v93, v10
	v_add_u32_e32 v53, 0x200, v53
	ds_write2_b32 v53, v44, v10 offset0:112 offset1:172
	v_lshrrev_b32_e32 v10, 16, v0
	v_mul_f16_sdwa v44, v0, v103 dst_sel:DWORD dst_unused:UNUSED_PAD src0_sel:DWORD src1_sel:WORD_1
	v_fma_f16 v44, v10, v103, v44
	v_mul_f16_sdwa v10, v10, v103 dst_sel:DWORD dst_unused:UNUSED_PAD src0_sel:DWORD src1_sel:WORD_1
	v_fma_f16 v0, v0, v103, -v10
	v_lshrrev_b32_e32 v10, 16, v89
	v_add_f16_e32 v53, v10, v106
	v_add_f16_e32 v95, v49, v108
	;; [unrolled: 1-line block ×3, first 2 shown]
	v_sub_f16_e32 v93, v106, v7
	v_add_f16_e32 v7, v106, v7
	v_add_f16_e32 v95, v95, v44
	v_sub_f16_e32 v96, v108, v44
	v_add_f16_e32 v44, v108, v44
	v_add_f16_e32 v97, v105, v109
	v_fma_f16 v7, v7, -0.5, v10
	v_add_f16_e32 v10, v107, v104
	v_fma_f16 v44, v44, -0.5, v49
	v_add_f16_e32 v49, v109, v0
	v_add_f16_e32 v97, v97, v0
	v_sub_f16_e32 v0, v109, v0
	v_fma_f16 v10, v10, -0.5, v89
	v_add_f16_e32 v89, v89, v107
	v_fma_f16 v49, v49, -0.5, v105
	v_fma_f16 v102, v0, s4, v44
	v_add_f16_e32 v89, v89, v104
	v_fma_f16 v98, v96, s5, v49
	v_mul_f16_e32 v103, 0x3aee, v102
	v_sub_f16_e32 v94, v107, v104
	v_fma_f16 v103, v98, 0.5, v103
	v_mul_f16_e32 v98, 0xbaee, v98
	v_add_f16_e32 v54, v89, v97
	v_add_f16_e32 v55, v53, v95
	v_fma_f16 v49, v96, s4, v49
	v_fma_f16 v98, v102, 0.5, v98
	v_pack_b32_f16 v54, v54, v55
	v_fma_f16 v55, v93, s5, v10
	v_fma_f16 v102, v94, s4, v7
	;; [unrolled: 1-line block ×3, first 2 shown]
	v_mul_f16_e32 v44, -0.5, v49
	v_add_f16_e32 v104, v55, v103
	v_add_f16_e32 v105, v102, v98
	v_fma_f16 v44, v0, s5, v44
	v_mul_f16_e32 v0, -0.5, v0
	v_pack_b32_f16 v104, v104, v105
	v_fma_f16 v10, v93, s4, v10
	v_fma_f16 v7, v94, s5, v7
	v_fma_f16 v0, v49, s4, v0
	ds_write2_b32 v48, v54, v104 offset1:60
	v_sub_f16_e32 v49, v89, v97
	v_sub_f16_e32 v53, v53, v95
	v_add_f16_e32 v54, v10, v44
	v_add_f16_e32 v89, v7, v0
	v_pack_b32_f16 v54, v54, v89
	v_pack_b32_f16 v49, v49, v53
	ds_write2_b32 v48, v54, v49 offset0:120 offset1:180
	v_sub_f16_e32 v49, v55, v103
	v_sub_f16_e32 v10, v10, v44
	;; [unrolled: 1-line block ×4, first 2 shown]
	v_pack_b32_f16 v7, v49, v44
	v_pack_b32_f16 v0, v10, v0
	v_add_u32_e32 v10, 0x200, v48
	ds_write2_b32 v10, v7, v0 offset0:112 offset1:172
	v_lshrrev_b32_e32 v0, 16, v1
	v_mul_f16_sdwa v7, v0, v85 dst_sel:DWORD dst_unused:UNUSED_PAD src0_sel:DWORD src1_sel:WORD_1
	v_fma_f16 v7, v1, v85, -v7
	v_mul_f16_sdwa v1, v1, v85 dst_sel:DWORD dst_unused:UNUSED_PAD src0_sel:DWORD src1_sel:WORD_1
	v_fma_f16 v0, v0, v85, v1
	v_add_f16_e32 v54, v46, v75
	v_add_f16_e32 v54, v54, v0
	v_sub_f16_e32 v55, v75, v0
	v_add_f16_e32 v0, v75, v0
	v_fma_f16 v0, v0, -0.5, v46
	v_add_f16_e32 v46, v110, v7
	v_fma_f16 v46, v46, -0.5, v5
	v_add_f16_e32 v5, v5, v110
	v_lshrrev_b32_e32 v1, 16, v88
	v_add_f16_e32 v48, v111, v112
	v_add_f16_e32 v5, v5, v7
	v_sub_f16_e32 v7, v110, v7
	v_add_f16_e32 v10, v1, v111
	v_fma_f16 v1, v48, -0.5, v1
	v_add_f16_e32 v48, v74, v72
	v_add_f16_e32 v49, v88, v74
	v_sub_f16_e32 v53, v74, v72
	v_fma_f16 v74, v7, s4, v0
	v_add_f16_e32 v49, v49, v72
	v_fma_f16 v72, v55, s5, v46
	v_mul_f16_e32 v75, 0x3aee, v74
	v_fma_f16 v46, v55, s4, v46
	v_add_f16_e32 v10, v10, v112
	v_fma_f16 v75, v72, 0.5, v75
	v_mul_f16_e32 v72, 0xbaee, v72
	v_fma_f16 v0, v7, s5, v0
	v_mul_f16_e32 v7, -0.5, v46
	v_sub_f16_e32 v44, v111, v112
	v_fma_f16 v48, v48, -0.5, v88
	v_fma_f16 v72, v74, 0.5, v72
	v_add_f16_e32 v52, v49, v5
	v_add_f16_e32 v74, v10, v54
	v_fma_f16 v7, v0, s5, v7
	v_mul_f16_e32 v0, -0.5, v0
	v_pack_b32_f16 v52, v52, v74
	v_fma_f16 v74, v44, s5, v48
	v_fma_f16 v85, v53, s4, v1
	;; [unrolled: 1-line block ×5, first 2 shown]
	v_sub_f16_e32 v5, v49, v5
	v_sub_f16_e32 v10, v10, v54
	v_add_f16_e32 v46, v44, v7
	v_add_f16_e32 v48, v1, v0
	v_pack_b32_f16 v46, v46, v48
	v_pack_b32_f16 v5, v5, v10
	ds_write2_b32 v47, v46, v5 offset0:120 offset1:180
	v_sub_f16_e32 v5, v74, v75
	v_sub_f16_e32 v7, v44, v7
	;; [unrolled: 1-line block ×4, first 2 shown]
	v_pack_b32_f16 v1, v5, v10
	v_pack_b32_f16 v0, v7, v0
	v_add_u32_e32 v5, 0x200, v47
	v_add_f16_e32 v88, v74, v75
	v_add_f16_e32 v89, v85, v72
	ds_write2_b32 v5, v1, v0 offset0:112 offset1:172
	v_lshrrev_b32_e32 v0, 16, v2
	v_mul_f16_sdwa v1, v2, v76 dst_sel:DWORD dst_unused:UNUSED_PAD src0_sel:DWORD src1_sel:WORD_1
	v_pack_b32_f16 v88, v88, v89
	v_fma_f16 v1, v0, v76, v1
	v_mul_f16_sdwa v0, v0, v76 dst_sel:DWORD dst_unused:UNUSED_PAD src0_sel:DWORD src1_sel:WORD_1
	v_add_f16_e32 v46, v6, v80
	ds_write2_b32 v47, v52, v88 offset1:60
	v_fma_f16 v0, v2, v76, -v0
	v_add_f16_e32 v46, v46, v1
	v_sub_f16_e32 v47, v80, v1
	v_add_f16_e32 v1, v80, v1
	v_add_f16_e32 v48, v92, v79
	v_fma_f16 v1, v1, -0.5, v6
	v_add_f16_e32 v6, v79, v0
	v_add_f16_e32 v48, v48, v0
	v_sub_f16_e32 v0, v79, v0
	v_fma_f16 v6, v6, -0.5, v92
	v_fma_f16 v52, v0, s4, v1
	v_lshrrev_b32_e32 v2, 16, v86
	v_fma_f16 v49, v47, s5, v6
	v_mul_f16_e32 v53, 0x3aee, v52
	v_add_f16_e32 v5, v2, v78
	v_add_f16_e32 v10, v78, v73
	;; [unrolled: 1-line block ×3, first 2 shown]
	v_fma_f16 v53, v49, 0.5, v53
	v_mul_f16_e32 v49, 0xbaee, v49
	v_fma_f16 v6, v47, s4, v6
	v_add_f16_e32 v5, v5, v73
	v_fma_f16 v2, v10, -0.5, v2
	v_add_f16_e32 v10, v77, v45
	v_add_f16_e32 v44, v44, v45
	v_fma_f16 v49, v52, 0.5, v49
	v_mul_u32_u24_e32 v52, 0x5a0, v90
	v_lshlrev_b32_e32 v54, 2, v91
	v_fma_f16 v0, v0, s5, v1
	v_mul_f16_e32 v1, -0.5, v6
	v_sub_f16_e32 v7, v78, v73
	v_fma_f16 v10, v10, -0.5, v86
	v_sub_f16_e32 v45, v77, v45
	v_add3_u32 v52, 0, v52, v54
	v_add_f16_e32 v54, v44, v48
	v_add_f16_e32 v55, v5, v46
	v_fma_f16 v1, v0, s5, v1
	v_mul_f16_e32 v0, -0.5, v0
	v_pack_b32_f16 v54, v54, v55
	v_fma_f16 v55, v7, s5, v10
	v_fma_f16 v72, v45, s4, v2
	;; [unrolled: 1-line block ×5, first 2 shown]
	v_sub_f16_e32 v6, v44, v48
	v_sub_f16_e32 v5, v5, v46
	v_add_f16_e32 v10, v7, v1
	v_add_f16_e32 v44, v2, v0
	v_pack_b32_f16 v10, v10, v44
	v_pack_b32_f16 v5, v6, v5
	ds_write2_b32 v52, v10, v5 offset0:120 offset1:180
	v_sub_f16_e32 v5, v55, v53
	v_sub_f16_e32 v1, v7, v1
	;; [unrolled: 1-line block ×4, first 2 shown]
	v_pack_b32_f16 v2, v5, v6
	v_pack_b32_f16 v0, v1, v0
	v_add_u32_e32 v1, 0x200, v52
	ds_write2_b32 v1, v2, v0 offset0:112 offset1:172
	v_lshrrev_b32_e32 v0, 16, v3
	v_mul_f16_sdwa v2, v3, v101 dst_sel:DWORD dst_unused:UNUSED_PAD src0_sel:DWORD src1_sel:WORD_1
	v_mul_f16_sdwa v1, v0, v101 dst_sel:DWORD dst_unused:UNUSED_PAD src0_sel:DWORD src1_sel:WORD_1
	v_fma_f16 v0, v0, v101, v2
	v_add_f16_e32 v10, v81, v4
	v_fma_f16 v1, v3, v101, -v1
	v_add_f16_e32 v10, v10, v0
	v_sub_f16_e32 v44, v4, v0
	v_add_f16_e32 v0, v4, v0
	v_add_f16_e32 v45, v113, v82
	v_fma_f16 v0, v0, -0.5, v81
	v_add_f16_e32 v4, v82, v1
	v_add_f16_e32 v45, v45, v1
	v_sub_f16_e32 v1, v82, v1
	v_fma_f16 v4, v4, -0.5, v113
	v_fma_f16 v47, v1, s4, v0
	v_lshrrev_b32_e32 v2, 16, v87
	v_fma_f16 v46, v44, s5, v4
	v_mul_f16_e32 v48, 0x3aee, v47
	v_add_f16_e32 v73, v55, v53
	v_add_f16_e32 v74, v72, v49
	;; [unrolled: 1-line block ×5, first 2 shown]
	v_fma_f16 v48, v46, 0.5, v48
	v_mul_f16_e32 v46, 0xbaee, v46
	v_fma_f16 v4, v44, s4, v4
	v_pack_b32_f16 v73, v73, v74
	v_add_f16_e32 v3, v3, v83
	v_fma_f16 v2, v6, -0.5, v2
	v_add_f16_e32 v6, v114, v84
	v_add_f16_e32 v7, v7, v84
	v_fma_f16 v46, v47, 0.5, v46
	v_mul_u32_u24_e32 v47, 0x5a0, v99
	v_lshlrev_b32_e32 v49, 2, v100
	v_fma_f16 v0, v1, s5, v0
	v_mul_f16_e32 v1, -0.5, v4
	ds_write2_b32 v52, v54, v73 offset1:60
	v_sub_f16_e32 v5, v9, v83
	v_fma_f16 v6, v6, -0.5, v87
	v_sub_f16_e32 v9, v114, v84
	v_add3_u32 v47, 0, v47, v49
	v_add_f16_e32 v49, v7, v45
	v_add_f16_e32 v52, v3, v10
	v_fma_f16 v1, v0, s5, v1
	v_mul_f16_e32 v0, -0.5, v0
	v_pack_b32_f16 v49, v49, v52
	v_fma_f16 v52, v5, s5, v6
	v_fma_f16 v53, v9, s4, v2
	;; [unrolled: 1-line block ×4, first 2 shown]
	v_sub_f16_e32 v4, v7, v45
	v_sub_f16_e32 v3, v3, v10
	s_movk_i32 s4, 0x2d83
	v_pack_b32_f16 v3, v4, v3
	v_mul_u32_u24_sdwa v4, v22, s4 dst_sel:DWORD dst_unused:UNUSED_PAD src0_sel:WORD_0 src1_sel:DWORD
	v_lshrrev_b32_e32 v4, 22, v4
	v_mul_lo_u16_e32 v4, 0x168, v4
	v_sub_u16_e32 v4, v22, v4
	v_lshlrev_b32_e32 v80, 2, v4
	v_mul_u32_u24_sdwa v4, v20, s4 dst_sel:DWORD dst_unused:UNUSED_PAD src0_sel:WORD_0 src1_sel:DWORD
	v_fma_f16 v2, v9, s5, v2
	v_lshrrev_b32_e32 v4, 22, v4
	v_add_f16_e32 v7, v5, v1
	v_add_f16_e32 v9, v2, v0
	v_mul_lo_u16_e32 v4, 0x168, v4
	v_sub_f16_e32 v6, v52, v48
	v_sub_f16_e32 v1, v5, v1
	;; [unrolled: 1-line block ×4, first 2 shown]
	v_pack_b32_f16 v2, v7, v9
	v_sub_u16_e32 v4, v20, v4
	ds_write2_b32 v47, v2, v3 offset0:120 offset1:180
	v_pack_b32_f16 v2, v6, v5
	v_pack_b32_f16 v0, v1, v0
	v_add_u32_e32 v1, 0x200, v47
	v_lshlrev_b32_e32 v81, 2, v4
	v_mul_u32_u24_sdwa v4, v26, s4 dst_sel:DWORD dst_unused:UNUSED_PAD src0_sel:WORD_0 src1_sel:DWORD
	ds_write2_b32 v1, v2, v0 offset0:112 offset1:172
	v_lshlrev_b64 v[2:3], 2, v[18:19]
	v_lshrrev_b32_e32 v82, 22, v4
	v_mul_lo_u16_e32 v4, 0x168, v82
	v_add_f16_e32 v54, v52, v48
	v_add_f16_e32 v55, v53, v46
	v_add_co_u32_e64 v44, s[0:1], s8, v2
	v_sub_u16_e32 v4, v26, v4
	v_pack_b32_f16 v54, v54, v55
	v_addc_co_u32_e64 v45, s[0:1], v11, v3, s[0:1]
	v_lshlrev_b64 v[0:1], 2, v[12:13]
	v_lshlrev_b32_e32 v83, 2, v4
	v_mul_u32_u24_sdwa v4, v24, s4 dst_sel:DWORD dst_unused:UNUSED_PAD src0_sel:WORD_0 src1_sel:DWORD
	ds_write2_b32 v47, v49, v54 offset1:60
	s_waitcnt lgkmcnt(0)
	s_barrier
	global_load_dword v19, v[44:45], off offset:1400
	v_lshrrev_b32_e32 v4, 22, v4
	v_add_co_u32_e64 v48, s[0:1], s8, v0
	v_mul_lo_u16_e32 v4, 0x168, v4
	v_addc_co_u32_e64 v49, s[0:1], v11, v1, s[0:1]
	v_sub_u16_e32 v4, v24, v4
	global_load_dword v13, v[48:49], off offset:1400
	global_load_dword v54, v[48:49], off offset:1496
	;; [unrolled: 1-line block ×3, first 2 shown]
	v_lshlrev_b32_e32 v84, 2, v4
	v_mul_u32_u24_sdwa v4, v30, s4 dst_sel:DWORD dst_unused:UNUSED_PAD src0_sel:WORD_0 src1_sel:DWORD
	v_mul_u32_u24_sdwa v5, v28, s4 dst_sel:DWORD dst_unused:UNUSED_PAD src0_sel:WORD_0 src1_sel:DWORD
	v_lshrrev_b32_e32 v4, 22, v4
	v_lshrrev_b32_e32 v5, 22, v5
	v_mul_lo_u16_e32 v4, 0x168, v4
	v_mul_lo_u16_e32 v5, 0x168, v5
	v_sub_u16_e32 v4, v30, v4
	v_sub_u16_e32 v5, v28, v5
	v_lshlrev_b32_e32 v85, 2, v4
	v_mul_u32_u24_sdwa v4, v32, s4 dst_sel:DWORD dst_unused:UNUSED_PAD src0_sel:WORD_0 src1_sel:DWORD
	global_load_dword v72, v80, s[8:9] offset:1400
	v_lshlrev_b32_e32 v86, 2, v5
	v_lshrrev_b32_e32 v4, 22, v4
	global_load_dword v87, v86, s[8:9] offset:1400
	global_load_dword v73, v81, s[8:9] offset:1400
	v_mul_lo_u16_e32 v4, 0x168, v4
	v_sub_u16_e32 v4, v32, v4
	v_lshlrev_b32_e32 v88, 2, v4
	v_lshlrev_b64 v[4:5], 2, v[16:17]
	v_mul_u32_u24_sdwa v6, v34, s4 dst_sel:DWORD dst_unused:UNUSED_PAD src0_sel:WORD_0 src1_sel:DWORD
	v_add_co_u32_e64 v46, s[0:1], s8, v4
	v_lshrrev_b32_e32 v90, 22, v6
	v_addc_co_u32_e64 v47, s[0:1], v11, v5, s[0:1]
	v_mul_lo_u16_e32 v6, 0x168, v90
	global_load_dword v74, v83, s[8:9] offset:1400
	global_load_dword v75, v84, s[8:9] offset:1400
	;; [unrolled: 1-line block ×4, first 2 shown]
	v_sub_u16_e32 v6, v34, v6
	s_movk_i32 s0, 0x48
	v_lshlrev_b32_e32 v91, 2, v6
	v_add_u32_e32 v6, 0xffffffb8, v12
	v_cmp_gt_u32_e64 s[0:1], s0, v12
	v_cndmask_b32_e64 v7, v6, v42, s[0:1]
	v_lshlrev_b64 v[9:10], 2, v[7:8]
	global_load_dword v17, v[46:47], off offset:1400
	global_load_dword v89, v[48:49], off offset:2264
	global_load_dword v92, v91, s[8:9] offset:1400
	v_add_co_u32_e64 v9, s[0:1], s8, v9
	v_addc_co_u32_e64 v10, s[0:1], v11, v10, s[0:1]
	global_load_dword v93, v[9:10], off offset:1400
	v_add_u32_e32 v6, 0x1600, v56
	ds_read2_b32 v[9:10], v6 offset0:32 offset1:128
	ds_read2_b32 v[52:53], v58 offset0:32 offset1:128
	v_add_u32_e32 v79, 0x1e00, v56
	s_movk_i32 s0, 0x47
	s_mov_b32 s4, 0xffff
	v_cmp_lt_u32_e64 s[0:1], s0, v12
	v_lshlrev_b32_e32 v7, 2, v7
	v_lshlrev_b64 v[40:41], 2, v[40:41]
	s_waitcnt vmcnt(14) lgkmcnt(1)
	v_pk_mul_f16 v78, v19, v10 op_sel:[0,1]
	v_pk_fma_f16 v94, v19, v10, v78 op_sel:[0,0,1] op_sel_hi:[1,1,0] neg_lo:[0,0,1] neg_hi:[0,0,1]
	v_pk_fma_f16 v19, v19, v10, v78 op_sel:[0,0,1] op_sel_hi:[1,0,0]
	v_bfi_b32 v19, s4, v94, v19
	s_waitcnt vmcnt(13)
	v_pk_mul_f16 v10, v13, v9 op_sel:[0,1]
	v_pk_fma_f16 v95, v13, v9, v10 op_sel:[0,0,1] op_sel_hi:[1,1,0] neg_lo:[0,0,1] neg_hi:[0,0,1]
	v_pk_fma_f16 v13, v13, v9, v10 op_sel:[0,0,1] op_sel_hi:[1,0,0]
	ds_read2_b32 v[9:10], v64 offset0:32 offset1:128
	s_waitcnt vmcnt(12) lgkmcnt(1)
	v_pk_mul_f16 v78, v52, v54 op_sel:[0,1]
	v_pk_fma_f16 v96, v52, v54, v78 op_sel:[0,0,1] op_sel_hi:[1,1,0] neg_lo:[0,0,1] neg_hi:[0,0,1]
	v_pk_fma_f16 v54, v52, v54, v78 op_sel:[0,0,1] op_sel_hi:[1,0,0]
	s_waitcnt vmcnt(11)
	v_pk_mul_f16 v52, v53, v55 op_sel:[0,1]
	v_pk_fma_f16 v97, v53, v55, v52 op_sel:[0,0,1] op_sel_hi:[1,1,0] neg_lo:[0,0,1] neg_hi:[0,0,1]
	v_pk_fma_f16 v55, v53, v55, v52 op_sel:[0,0,1] op_sel_hi:[1,0,0]
	ds_read2_b32 v[52:53], v59 offset0:96 offset1:192
	v_bfi_b32 v13, s4, v95, v13
	s_waitcnt vmcnt(10) lgkmcnt(1)
	v_pk_mul_f16 v78, v10, v72 op_sel:[0,1]
	v_pk_fma_f16 v98, v10, v72, v78 op_sel:[0,0,1] op_sel_hi:[1,1,0] neg_lo:[0,0,1] neg_hi:[0,0,1]
	v_pk_fma_f16 v99, v10, v72, v78 op_sel:[0,0,1] op_sel_hi:[1,0,0]
	s_waitcnt vmcnt(8)
	v_pk_mul_f16 v10, v9, v73 op_sel:[0,1]
	v_add_u32_e32 v78, 0x2200, v56
	v_pk_fma_f16 v100, v9, v73, v10 op_sel:[0,0,1] op_sel_hi:[1,1,0] neg_lo:[0,0,1] neg_hi:[0,0,1]
	v_pk_fma_f16 v101, v9, v73, v10 op_sel:[0,0,1] op_sel_hi:[1,0,0]
	ds_read2_b32 v[9:10], v78 offset0:32 offset1:128
	s_waitcnt vmcnt(7) lgkmcnt(1)
	v_pk_mul_f16 v72, v53, v74 op_sel:[0,1]
	v_pk_fma_f16 v102, v53, v74, v72 op_sel:[0,0,1] op_sel_hi:[1,1,0] neg_lo:[0,0,1] neg_hi:[0,0,1]
	v_pk_fma_f16 v103, v53, v74, v72 op_sel:[0,0,1] op_sel_hi:[1,0,0]
	s_waitcnt vmcnt(6)
	v_pk_mul_f16 v53, v52, v75 op_sel:[0,1]
	v_pk_fma_f16 v104, v52, v75, v53 op_sel:[0,0,1] op_sel_hi:[1,1,0] neg_lo:[0,0,1] neg_hi:[0,0,1]
	v_pk_fma_f16 v105, v52, v75, v53 op_sel:[0,0,1] op_sel_hi:[1,0,0]
	s_waitcnt vmcnt(5) lgkmcnt(0)
	v_pk_mul_f16 v72, v10, v76 op_sel:[0,1]
	ds_read2_b32 v[52:53], v79 offset0:96 offset1:192
	v_pk_fma_f16 v106, v10, v76, v72 op_sel:[0,0,1] op_sel_hi:[1,1,0] neg_lo:[0,0,1] neg_hi:[0,0,1]
	v_pk_fma_f16 v107, v10, v76, v72 op_sel:[0,0,1] op_sel_hi:[1,0,0]
	s_waitcnt vmcnt(4)
	v_pk_mul_f16 v10, v9, v77 op_sel:[0,1]
	v_pk_fma_f16 v108, v9, v77, v10 op_sel:[0,0,1] op_sel_hi:[1,1,0] neg_lo:[0,0,1] neg_hi:[0,0,1]
	v_pk_fma_f16 v109, v9, v77, v10 op_sel:[0,0,1] op_sel_hi:[1,0,0]
	ds_read2_b32 v[9:10], v65 offset0:96 offset1:192
	s_waitcnt vmcnt(2) lgkmcnt(1)
	v_pk_mul_f16 v72, v52, v89 op_sel:[0,1]
	v_pk_fma_f16 v110, v52, v89, v72 op_sel:[0,0,1] op_sel_hi:[1,1,0] neg_lo:[0,0,1] neg_hi:[0,0,1]
	v_pk_fma_f16 v52, v52, v89, v72 op_sel:[0,0,1] op_sel_hi:[1,0,0]
	s_waitcnt vmcnt(1)
	v_pk_mul_f16 v72, v53, v92 op_sel:[0,1]
	v_pk_fma_f16 v89, v53, v92, v72 op_sel:[0,0,1] op_sel_hi:[1,1,0] neg_lo:[0,0,1] neg_hi:[0,0,1]
	v_pk_fma_f16 v53, v53, v92, v72 op_sel:[0,0,1] op_sel_hi:[1,0,0]
	s_waitcnt lgkmcnt(0)
	v_pk_mul_f16 v72, v9, v17 op_sel:[0,1]
	v_pk_fma_f16 v73, v9, v17, v72 op_sel:[0,0,1] op_sel_hi:[1,1,0] neg_lo:[0,0,1] neg_hi:[0,0,1]
	v_pk_fma_f16 v9, v9, v17, v72 op_sel:[0,0,1] op_sel_hi:[1,0,0]
	s_waitcnt vmcnt(0)
	v_pk_mul_f16 v17, v10, v93 op_sel:[0,1]
	v_pk_fma_f16 v72, v10, v93, v17 op_sel:[0,0,1] op_sel_hi:[1,1,0] neg_lo:[0,0,1] neg_hi:[0,0,1]
	v_pk_fma_f16 v10, v10, v93, v17 op_sel:[0,0,1] op_sel_hi:[1,0,0]
	v_mov_b32_e32 v17, 0xb40
	v_cndmask_b32_e64 v17, 0, v17, s[0:1]
	v_lshl_add_u32 v77, v36, 2, 0
	v_add3_u32 v7, 0, v17, v7
	v_lshl_add_u32 v76, v34, 2, 0
	ds_read_b32 v92, v77
	ds_read_b32 v93, v76
	;; [unrolled: 1-line block ×3, first 2 shown]
	ds_read_b32 v94, v56 offset:11136
	ds_read_b32 v95, v67
	ds_read_b32 v111, v68
	;; [unrolled: 1-line block ×4, first 2 shown]
	s_waitcnt lgkmcnt(5)
	v_pk_add_f16 v114, v17, v13 neg_lo:[0,1] neg_hi:[0,1]
	v_lshl_add_u32 v75, v32, 2, 0
	v_bfi_b32 v9, s4, v73, v9
	v_bfi_b32 v10, s4, v72, v10
	v_pk_fma_f16 v115, v17, 2.0, v114 op_sel_hi:[1,0,1] neg_lo:[0,0,1] neg_hi:[0,0,1]
	v_lshl_add_u32 v74, v30, 2, 0
	v_lshl_add_u32 v73, v26, 2, 0
	;; [unrolled: 1-line block ×4, first 2 shown]
	ds_read_b32 v116, v75
	ds_read_b32 v117, v74
	;; [unrolled: 1-line block ×5, first 2 shown]
	v_lshl_add_u32 v13, v28, 2, 0
	ds_read_b32 v121, v70
	ds_read_b32 v122, v71
	;; [unrolled: 1-line block ×3, first 2 shown]
	s_waitcnt lgkmcnt(0)
	s_barrier
	v_pk_add_f16 v19, v122, v19 neg_lo:[0,1] neg_hi:[0,1]
	ds_write_b32 v56, v115
	ds_write_b32 v56, v114 offset:1440
	v_pk_fma_f16 v114, v122, 2.0, v19 op_sel_hi:[1,0,1] neg_lo:[0,0,1] neg_hi:[0,0,1]
	v_pk_add_f16 v9, v121, v9 neg_lo:[0,1] neg_hi:[0,1]
	ds_write_b32 v71, v114
	ds_write_b32 v71, v19 offset:1440
	v_pk_fma_f16 v19, v121, 2.0, v9 op_sel_hi:[1,0,1] neg_lo:[0,0,1] neg_hi:[0,0,1]
	ds_write_b32 v70, v19
	ds_write_b32 v70, v9 offset:1440
	v_pk_add_f16 v9, v111, v10 neg_lo:[0,1] neg_hi:[0,1]
	v_pk_fma_f16 v10, v111, 2.0, v9 op_sel_hi:[1,0,1] neg_lo:[0,0,1] neg_hi:[0,0,1]
	ds_write_b32 v7, v10
	ds_write_b32 v7, v9 offset:1440
	v_bfi_b32 v7, s4, v96, v54
	v_bfi_b32 v9, s4, v97, v55
	v_pk_add_f16 v7, v95, v7 neg_lo:[0,1] neg_hi:[0,1]
	v_pk_add_f16 v9, v113, v9 neg_lo:[0,1] neg_hi:[0,1]
	v_pk_fma_f16 v10, v95, 2.0, v7 op_sel_hi:[1,0,1] neg_lo:[0,0,1] neg_hi:[0,0,1]
	v_pk_fma_f16 v19, v113, 2.0, v9 op_sel_hi:[1,0,1] neg_lo:[0,0,1] neg_hi:[0,0,1]
	ds_write2_b32 v51, v10, v19 offset0:104 offset1:200
	v_bfi_b32 v10, s4, v110, v52
	v_pk_add_f16 v10, v92, v10 neg_lo:[0,1] neg_hi:[0,1]
	v_pk_fma_f16 v19, v92, 2.0, v10 op_sel_hi:[1,0,1] neg_lo:[0,0,1] neg_hi:[0,0,1]
	ds_write2_b32 v50, v19, v7 offset0:40 offset1:208
	v_add_u32_e32 v7, 0x1200, v56
	v_bfi_b32 v19, s4, v89, v53
	ds_write2_b32 v7, v9, v10 offset0:48 offset1:144
	v_mul_u32_u24_e32 v10, 0xb40, v90
	v_pk_add_f16 v19, v93, v19 neg_lo:[0,1] neg_hi:[0,1]
	v_add3_u32 v10, 0, v10, v91
	v_pk_fma_f16 v50, v93, 2.0, v19 op_sel_hi:[1,0,1] neg_lo:[0,0,1] neg_hi:[0,0,1]
	ds_write_b32 v10, v50
	ds_write_b32 v10, v19 offset:1440
	v_bfi_b32 v10, s4, v108, v109
	v_pk_add_f16 v10, v116, v10 neg_lo:[0,1] neg_hi:[0,1]
	v_add_u32_e32 v19, 0, v88
	v_pk_fma_f16 v50, v116, 2.0, v10 op_sel_hi:[1,0,1] neg_lo:[0,0,1] neg_hi:[0,0,1]
	ds_write_b32 v19, v50 offset:5760
	ds_write_b32 v19, v10 offset:7200
	v_bfi_b32 v10, s4, v106, v107
	v_pk_add_f16 v10, v117, v10 neg_lo:[0,1] neg_hi:[0,1]
	v_add_u32_e32 v19, 0, v85
	v_pk_fma_f16 v50, v117, 2.0, v10 op_sel_hi:[1,0,1] neg_lo:[0,0,1] neg_hi:[0,0,1]
	ds_write_b32 v19, v50 offset:5760
	;; [unrolled: 6-line block ×3, first 2 shown]
	ds_write_b32 v19, v10 offset:7200
	v_bfi_b32 v19, s4, v102, v103
	v_mul_u32_u24_e32 v10, 0xb40, v82
	v_pk_add_f16 v19, v118, v19 neg_lo:[0,1] neg_hi:[0,1]
	v_add3_u32 v10, 0, v10, v83
	v_pk_fma_f16 v50, v118, 2.0, v19 op_sel_hi:[1,0,1] neg_lo:[0,0,1] neg_hi:[0,0,1]
	ds_write_b32 v10, v50
	ds_write_b32 v10, v19 offset:1440
	v_bfi_b32 v10, s4, v100, v101
	v_pk_add_f16 v10, v119, v10 neg_lo:[0,1] neg_hi:[0,1]
	v_pk_mul_f16 v7, v94, v87 op_sel:[0,1]
	v_add_u32_e32 v19, 0, v81
	v_pk_fma_f16 v50, v119, 2.0, v10 op_sel_hi:[1,0,1] neg_lo:[0,0,1] neg_hi:[0,0,1]
	v_pk_fma_f16 v9, v94, v87, v7 op_sel:[0,0,1] op_sel_hi:[1,1,0] neg_lo:[0,0,1] neg_hi:[0,0,1]
	v_pk_fma_f16 v7, v94, v87, v7 op_sel:[0,0,1] op_sel_hi:[1,0,0]
	ds_write_b32 v19, v50 offset:8640
	ds_write_b32 v19, v10 offset:10080
	v_bfi_b32 v10, s4, v98, v99
	v_pk_add_f16 v10, v120, v10 neg_lo:[0,1] neg_hi:[0,1]
	v_bfi_b32 v7, s4, v9, v7
	v_add_u32_e32 v19, 0, v80
	v_pk_fma_f16 v50, v120, 2.0, v10 op_sel_hi:[1,0,1] neg_lo:[0,0,1] neg_hi:[0,0,1]
	v_pk_add_f16 v7, v123, v7 neg_lo:[0,1] neg_hi:[0,1]
	ds_write_b32 v19, v50 offset:8640
	ds_write_b32 v19, v10 offset:10080
	v_add_u32_e32 v9, 0, v86
	v_pk_fma_f16 v10, v123, 2.0, v7 op_sel_hi:[1,0,1] neg_lo:[0,0,1] neg_hi:[0,0,1]
	ds_write_b32 v9, v10 offset:8640
	ds_write_b32 v9, v7 offset:10080
	s_waitcnt lgkmcnt(0)
	s_barrier
	global_load_dword v19, v[48:49], off offset:2840
	global_load_dword v84, v[44:45], off offset:2840
	v_lshlrev_b64 v[9:10], 2, v[42:43]
	v_subrev_u32_e32 v7, 48, v12
	v_add_co_u32_e64 v42, s[0:1], s8, v9
	v_addc_co_u32_e64 v43, s[0:1], v11, v10, s[0:1]
	v_cmp_gt_u32_e64 s[0:1], 48, v12
	v_cndmask_b32_e64 v7, v7, v34, s[0:1]
	v_add_co_u32_e64 v50, s[0:1], s8, v40
	v_lshlrev_b64 v[80:81], 2, v[7:8]
	v_addc_co_u32_e64 v51, s[0:1], v11, v41, s[0:1]
	global_load_dword v8, v[46:47], off offset:2840
	global_load_dword v85, v[42:43], off offset:2840
	global_load_dword v86, v[50:51], off offset:2840
	v_add_co_u32_e64 v52, s[0:1], s8, v38
	v_lshlrev_b64 v[36:37], 2, v[36:37]
	v_addc_co_u32_e64 v53, s[0:1], v11, v39, s[0:1]
	v_add_co_u32_e64 v54, s[0:1], s8, v36
	v_addc_co_u32_e64 v55, s[0:1], v11, v37, s[0:1]
	s_movk_i32 s4, 0x1000
	global_load_dword v87, v[52:53], off offset:2840
	v_add_co_u32_e64 v82, s[0:1], s4, v48
	v_addc_co_u32_e64 v83, s[0:1], 0, v49, s[0:1]
	global_load_dword v88, v[82:83], off offset:88
	global_load_dword v89, v[82:83], off offset:472
	;; [unrolled: 1-line block ×5, first 2 shown]
	v_add_co_u32_e64 v80, s[0:1], s8, v80
	v_addc_co_u32_e64 v81, s[0:1], v11, v81, s[0:1]
	global_load_dword v93, v[80:81], off offset:2840
	ds_read2_b32 v[80:81], v6 offset0:32 offset1:128
	global_load_dword v95, v[48:49], off offset:3032
	global_load_dword v96, v[48:49], off offset:3416
	;; [unrolled: 1-line block ×3, first 2 shown]
	v_cmp_lt_u32_e64 s[0:1], 47, v12
	v_lshlrev_b32_e32 v7, 2, v7
	v_lshlrev_b64 v[34:35], 2, v[34:35]
	s_waitcnt lgkmcnt(0)
	v_lshrrev_b32_e32 v94, 16, v80
	v_lshlrev_b64 v[32:33], 2, v[32:33]
	v_lshlrev_b64 v[30:31], 2, v[30:31]
	v_lshlrev_b64 v[26:27], 2, v[26:27]
	s_waitcnt vmcnt(14)
	v_mul_f16_sdwa v48, v19, v80 dst_sel:DWORD dst_unused:UNUSED_PAD src0_sel:WORD_1 src1_sel:DWORD
	v_fma_f16 v98, v19, v94, v48
	v_mul_f16_sdwa v48, v19, v94 dst_sel:DWORD dst_unused:UNUSED_PAD src0_sel:WORD_1 src1_sel:DWORD
	v_fma_f16 v19, v19, v80, -v48
	ds_read2_b32 v[48:49], v65 offset0:96 offset1:192
	v_lshrrev_b32_e32 v80, 16, v81
	s_waitcnt vmcnt(13)
	v_mul_f16_sdwa v94, v84, v80 dst_sel:DWORD dst_unused:UNUSED_PAD src0_sel:WORD_1 src1_sel:DWORD
	v_fma_f16 v94, v84, v81, -v94
	v_mul_f16_sdwa v81, v84, v81 dst_sel:DWORD dst_unused:UNUSED_PAD src0_sel:WORD_1 src1_sel:DWORD
	v_fma_f16 v99, v84, v80, v81
	s_waitcnt lgkmcnt(0)
	v_lshrrev_b32_e32 v80, 16, v48
	s_waitcnt vmcnt(12)
	v_mul_f16_sdwa v81, v8, v48 dst_sel:DWORD dst_unused:UNUSED_PAD src0_sel:WORD_1 src1_sel:DWORD
	v_fma_f16 v100, v8, v80, v81
	v_mul_f16_sdwa v80, v8, v80 dst_sel:DWORD dst_unused:UNUSED_PAD src0_sel:WORD_1 src1_sel:DWORD
	v_fma_f16 v8, v8, v48, -v80
	ds_read2_b32 v[80:81], v58 offset0:32 offset1:128
	v_lshrrev_b32_e32 v48, 16, v49
	s_waitcnt vmcnt(11)
	v_mul_f16_sdwa v84, v48, v85 dst_sel:DWORD dst_unused:UNUSED_PAD src0_sel:DWORD src1_sel:WORD_1
	v_fma_f16 v101, v49, v85, -v84
	v_mul_f16_sdwa v49, v49, v85 dst_sel:DWORD dst_unused:UNUSED_PAD src0_sel:DWORD src1_sel:WORD_1
	v_fma_f16 v102, v48, v85, v49
	s_waitcnt lgkmcnt(0)
	v_lshrrev_b32_e32 v48, 16, v80
	s_waitcnt vmcnt(10)
	v_mul_f16_sdwa v49, v80, v86 dst_sel:DWORD dst_unused:UNUSED_PAD src0_sel:DWORD src1_sel:WORD_1
	v_fma_f16 v103, v48, v86, v49
	v_mul_f16_sdwa v48, v48, v86 dst_sel:DWORD dst_unused:UNUSED_PAD src0_sel:DWORD src1_sel:WORD_1
	v_fma_f16 v86, v80, v86, -v48
	ds_read2_b32 v[48:49], v79 offset0:96 offset1:192
	v_lshrrev_b32_e32 v80, 16, v81
	s_waitcnt vmcnt(9)
	v_mul_f16_sdwa v84, v80, v87 dst_sel:DWORD dst_unused:UNUSED_PAD src0_sel:DWORD src1_sel:WORD_1
	v_fma_f16 v104, v81, v87, -v84
	v_mul_f16_sdwa v81, v81, v87 dst_sel:DWORD dst_unused:UNUSED_PAD src0_sel:DWORD src1_sel:WORD_1
	v_fma_f16 v87, v80, v87, v81
	s_waitcnt lgkmcnt(0)
	v_lshrrev_b32_e32 v80, 16, v48
	s_waitcnt vmcnt(4)
	v_mul_f16_sdwa v81, v48, v92 dst_sel:DWORD dst_unused:UNUSED_PAD src0_sel:DWORD src1_sel:WORD_1
	v_fma_f16 v105, v80, v92, v81
	v_mul_f16_sdwa v80, v80, v92 dst_sel:DWORD dst_unused:UNUSED_PAD src0_sel:DWORD src1_sel:WORD_1
	v_fma_f16 v92, v48, v92, -v80
	v_lshrrev_b32_e32 v48, 16, v49
	s_waitcnt vmcnt(3)
	v_mul_f16_sdwa v80, v48, v93 dst_sel:DWORD dst_unused:UNUSED_PAD src0_sel:DWORD src1_sel:WORD_1
	v_fma_f16 v106, v49, v93, -v80
	v_mul_f16_sdwa v49, v49, v93 dst_sel:DWORD dst_unused:UNUSED_PAD src0_sel:DWORD src1_sel:WORD_1
	v_fma_f16 v93, v48, v93, v49
	ds_read_b32 v107, v77
	ds_read_b32 v108, v76
	;; [unrolled: 1-line block ×3, first 2 shown]
	ds_read_b32 v109, v56 offset:11136
	ds_read_b32 v110, v67
	ds_read_b32 v111, v68
	;; [unrolled: 1-line block ×4, first 2 shown]
	s_waitcnt lgkmcnt(5)
	v_lshrrev_b32_e32 v49, 16, v48
	v_sub_f16_e32 v19, v48, v19
	v_sub_f16_e32 v98, v49, v98
	v_fma_f16 v48, v48, 2.0, -v19
	v_fma_f16 v49, v49, 2.0, -v98
	v_pack_b32_f16 v114, v48, v49
	ds_read_b32 v115, v75
	ds_read_b32 v116, v74
	;; [unrolled: 1-line block ×8, first 2 shown]
	ds_read2_b32 v[48:49], v78 offset0:32 offset1:128
	ds_read2_b32 v[80:81], v59 offset0:96 offset1:192
	;; [unrolled: 1-line block ×3, first 2 shown]
	v_pack_b32_f16 v19, v19, v98
	s_waitcnt vmcnt(0) lgkmcnt(0)
	s_barrier
	ds_write_b32 v56, v19 offset:2880
	v_sub_f16_e32 v19, v121, v94
	v_lshrrev_b32_e32 v94, 16, v121
	v_sub_f16_e32 v98, v94, v99
	v_fma_f16 v99, v121, 2.0, -v19
	v_fma_f16 v94, v94, 2.0, -v98
	v_pack_b32_f16 v19, v19, v98
	ds_write_b32 v56, v114
	v_pack_b32_f16 v94, v99, v94
	ds_write_b32 v71, v19 offset:2880
	v_lshrrev_b32_e32 v19, 16, v120
	ds_write_b32 v71, v94
	v_sub_f16_e32 v8, v120, v8
	v_sub_f16_e32 v94, v19, v100
	v_fma_f16 v98, v120, 2.0, -v8
	v_fma_f16 v19, v19, 2.0, -v94
	v_pack_b32_f16 v19, v98, v19
	ds_write_b32 v70, v19
	v_pack_b32_f16 v8, v8, v94
	v_lshrrev_b32_e32 v19, 16, v111
	ds_write_b32 v70, v8 offset:2880
	v_sub_f16_e32 v8, v111, v101
	v_sub_f16_e32 v94, v19, v102
	v_fma_f16 v98, v111, 2.0, -v8
	v_fma_f16 v19, v19, 2.0, -v94
	v_pack_b32_f16 v19, v98, v19
	ds_write_b32 v68, v19
	v_pack_b32_f16 v8, v8, v94
	v_lshrrev_b32_e32 v19, 16, v110
	ds_write_b32 v68, v8 offset:2880
	;; [unrolled: 9-line block ×4, first 2 shown]
	v_sub_f16_e32 v8, v107, v92
	v_sub_f16_e32 v86, v19, v105
	v_fma_f16 v87, v107, 2.0, -v8
	v_fma_f16 v19, v19, 2.0, -v86
	v_pack_b32_f16 v8, v8, v86
	v_pack_b32_f16 v19, v87, v19
	ds_write_b32 v77, v8 offset:2880
	v_mov_b32_e32 v8, 0x1680
	ds_write_b32 v77, v19
	v_cndmask_b32_e64 v8, 0, v8, s[0:1]
	v_lshrrev_b32_e32 v19, 16, v108
	v_add3_u32 v7, 0, v8, v7
	v_sub_f16_e32 v8, v108, v106
	v_sub_f16_e32 v86, v19, v93
	v_fma_f16 v87, v108, 2.0, -v8
	v_fma_f16 v19, v19, 2.0, -v86
	v_pack_b32_f16 v19, v87, v19
	v_pack_b32_f16 v8, v8, v86
	ds_write_b32 v7, v19
	ds_write_b32 v7, v8 offset:2880
	v_lshrrev_b32_e32 v7, 16, v81
	v_mul_f16_sdwa v8, v81, v88 dst_sel:DWORD dst_unused:UNUSED_PAD src0_sel:DWORD src1_sel:WORD_1
	v_fma_f16 v8, v7, v88, v8
	v_mul_f16_sdwa v7, v7, v88 dst_sel:DWORD dst_unused:UNUSED_PAD src0_sel:DWORD src1_sel:WORD_1
	v_fma_f16 v7, v81, v88, -v7
	v_lshrrev_b32_e32 v19, 16, v84
	v_mul_f16_sdwa v81, v84, v89 dst_sel:DWORD dst_unused:UNUSED_PAD src0_sel:DWORD src1_sel:WORD_1
	v_fma_f16 v81, v19, v89, v81
	v_mul_f16_sdwa v19, v19, v89 dst_sel:DWORD dst_unused:UNUSED_PAD src0_sel:DWORD src1_sel:WORD_1
	v_fma_f16 v19, v84, v89, -v19
	v_lshrrev_b32_e32 v84, 16, v117
	v_lshrrev_b32_e32 v86, 16, v118
	v_sub_f16_e32 v7, v117, v7
	v_sub_f16_e32 v8, v84, v8
	;; [unrolled: 1-line block ×4, first 2 shown]
	v_pack_b32_f16 v87, v7, v8
	v_pack_b32_f16 v88, v19, v81
	ds_write2_b32 v66, v87, v88 offset0:64 offset1:160
	v_lshrrev_b32_e32 v66, 16, v109
	v_mul_f16_sdwa v88, v109, v91 dst_sel:DWORD dst_unused:UNUSED_PAD src0_sel:DWORD src1_sel:WORD_1
	v_mul_f16_sdwa v87, v66, v91 dst_sel:DWORD dst_unused:UNUSED_PAD src0_sel:DWORD src1_sel:WORD_1
	v_fma_f16 v66, v66, v91, v88
	v_lshrrev_b32_e32 v88, 16, v48
	v_mul_f16_sdwa v89, v48, v95 dst_sel:DWORD dst_unused:UNUSED_PAD src0_sel:DWORD src1_sel:WORD_1
	v_fma_f16 v89, v88, v95, v89
	v_mul_f16_sdwa v88, v88, v95 dst_sel:DWORD dst_unused:UNUSED_PAD src0_sel:DWORD src1_sel:WORD_1
	v_fma_f16 v87, v109, v91, -v87
	v_fma_f16 v48, v48, v95, -v88
	v_lshrrev_b32_e32 v88, 16, v122
	v_sub_f16_e32 v87, v122, v87
	v_sub_f16_e32 v66, v88, v66
	v_fma_f16 v91, v122, 2.0, -v87
	v_fma_f16 v88, v88, 2.0, -v66
	v_pack_b32_f16 v88, v91, v88
	v_lshrrev_b32_e32 v91, 16, v115
	v_sub_f16_e32 v48, v115, v48
	v_sub_f16_e32 v89, v91, v89
	v_pack_b32_f16 v92, v48, v89
	ds_write2_b32 v69, v88, v92 offset0:16 offset1:160
	v_lshrrev_b32_e32 v69, 16, v49
	v_mul_f16_sdwa v88, v69, v96 dst_sel:DWORD dst_unused:UNUSED_PAD src0_sel:DWORD src1_sel:WORD_1
	v_fma_f16 v88, v49, v96, -v88
	v_mul_f16_sdwa v49, v49, v96 dst_sel:DWORD dst_unused:UNUSED_PAD src0_sel:DWORD src1_sel:WORD_1
	v_fma_f16 v49, v69, v96, v49
	v_lshrrev_b32_e32 v69, 16, v80
	v_mul_f16_sdwa v92, v69, v97 dst_sel:DWORD dst_unused:UNUSED_PAD src0_sel:DWORD src1_sel:WORD_1
	v_fma_f16 v92, v80, v97, -v92
	v_mul_f16_sdwa v80, v80, v97 dst_sel:DWORD dst_unused:UNUSED_PAD src0_sel:DWORD src1_sel:WORD_1
	v_fma_f16 v69, v69, v97, v80
	v_lshrrev_b32_e32 v80, 16, v85
	v_mul_f16_sdwa v93, v80, v90 dst_sel:DWORD dst_unused:UNUSED_PAD src0_sel:DWORD src1_sel:WORD_1
	v_fma_f16 v93, v85, v90, -v93
	v_mul_f16_sdwa v85, v85, v90 dst_sel:DWORD dst_unused:UNUSED_PAD src0_sel:DWORD src1_sel:WORD_1
	v_fma_f16 v80, v80, v90, v85
	v_fma_f16 v48, v115, 2.0, -v48
	v_fma_f16 v85, v91, 2.0, -v89
	v_pack_b32_f16 v48, v48, v85
	v_sub_f16_e32 v85, v116, v88
	v_lshrrev_b32_e32 v88, 16, v116
	v_sub_f16_e32 v49, v88, v49
	v_fma_f16 v89, v116, 2.0, -v85
	v_fma_f16 v88, v88, 2.0, -v49
	v_pack_b32_f16 v88, v89, v88
	ds_write2_b32 v6, v48, v88 offset0:80 offset1:176
	v_pack_b32_f16 v48, v85, v49
	v_lshrrev_b32_e32 v85, 16, v112
	v_sub_f16_e32 v49, v112, v92
	v_sub_f16_e32 v69, v85, v69
	v_pack_b32_f16 v88, v49, v69
	ds_write2_b32 v59, v48, v88 offset1:96
	v_fma_f16 v48, v112, 2.0, -v49
	v_fma_f16 v49, v85, 2.0, -v69
	;; [unrolled: 1-line block ×4, first 2 shown]
	v_pack_b32_f16 v48, v48, v49
	v_pack_b32_f16 v7, v7, v8
	ds_write2_b32 v65, v48, v7 offset0:144 offset1:240
	v_fma_f16 v7, v118, 2.0, -v19
	v_fma_f16 v8, v86, 2.0, -v81
	v_lshrrev_b32_e32 v19, 16, v119
	v_pack_b32_f16 v7, v7, v8
	v_sub_f16_e32 v8, v119, v93
	v_sub_f16_e32 v48, v19, v80
	v_fma_f16 v49, v119, 2.0, -v8
	v_fma_f16 v19, v19, 2.0, -v48
	v_pack_b32_f16 v19, v49, v19
	ds_write2_b32 v58, v7, v19 offset0:80 offset1:176
	v_pack_b32_f16 v7, v8, v48
	v_pack_b32_f16 v8, v87, v66
	ds_write2_b32 v64, v7, v8 offset0:128 offset1:224
	s_waitcnt lgkmcnt(0)
	s_barrier
	global_load_dword v66, v[82:83], off offset:1624
	v_add_co_u32_e64 v7, s[0:1], s4, v44
	v_addc_co_u32_e64 v8, s[0:1], 0, v45, s[0:1]
	v_add_co_u32_e64 v44, s[0:1], s4, v46
	v_addc_co_u32_e64 v45, s[0:1], 0, v47, s[0:1]
	;; [unrolled: 2-line block ×6, first 2 shown]
	ds_read2_b32 v[50:51], v6 offset0:32 offset1:128
	v_add_co_u32_e64 v6, s[0:1], s8, v34
	v_addc_co_u32_e64 v19, s[0:1], v11, v35, s[0:1]
	v_add_co_u32_e64 v54, s[0:1], s4, v6
	v_addc_co_u32_e64 v55, s[0:1], 0, v19, s[0:1]
	global_load_dword v80, v[7:8], off offset:1624
	global_load_dword v81, v[44:45], off offset:1624
	;; [unrolled: 1-line block ×7, first 2 shown]
	s_waitcnt lgkmcnt(0)
	v_lshrrev_b32_e32 v69, 16, v50
	s_waitcnt vmcnt(7)
	v_mul_f16_sdwa v6, v66, v50 dst_sel:DWORD dst_unused:UNUSED_PAD src0_sel:WORD_1 src1_sel:DWORD
	v_fma_f16 v8, v66, v69, v6
	v_add_co_u32_e64 v6, s[0:1], s8, v32
	v_addc_co_u32_e64 v7, s[0:1], v11, v33, s[0:1]
	v_add_co_u32_e64 v6, s[0:1], s4, v6
	v_addc_co_u32_e64 v7, s[0:1], 0, v7, s[0:1]
	;; [unrolled: 2-line block ×4, first 2 shown]
	v_lshlrev_b64 v[42:43], 2, v[24:25]
	v_add_co_u32_e64 v19, s[0:1], s8, v42
	v_addc_co_u32_e64 v25, s[0:1], v11, v43, s[0:1]
	v_add_co_u32_e64 v24, s[0:1], s4, v19
	v_addc_co_u32_e64 v25, s[0:1], 0, v25, s[0:1]
	global_load_dword v46, v[6:7], off offset:1624
	global_load_dword v47, v[44:45], off offset:1624
	;; [unrolled: 1-line block ×3, first 2 shown]
	v_add_co_u32_e64 v6, s[0:1], s8, v26
	v_addc_co_u32_e64 v7, s[0:1], v11, v27, s[0:1]
	v_add_co_u32_e64 v6, s[0:1], s4, v6
	v_lshlrev_b64 v[24:25], 2, v[20:21]
	v_addc_co_u32_e64 v7, s[0:1], 0, v7, s[0:1]
	v_add_co_u32_e64 v19, s[0:1], s8, v24
	v_addc_co_u32_e64 v20, s[0:1], v11, v25, s[0:1]
	v_add_co_u32_e64 v19, s[0:1], s4, v19
	v_addc_co_u32_e64 v20, s[0:1], 0, v20, s[0:1]
	global_load_dword v44, v[6:7], off offset:1624
	global_load_dword v45, v[19:20], off offset:1624
	v_lshlrev_b64 v[19:20], 2, v[22:23]
	v_add_co_u32_e64 v6, s[0:1], s8, v19
	v_addc_co_u32_e64 v7, s[0:1], v11, v20, s[0:1]
	v_add_co_u32_e64 v6, s[0:1], s4, v6
	v_addc_co_u32_e64 v7, s[0:1], 0, v7, s[0:1]
	global_load_dword v23, v[6:7], off offset:1624
	v_mul_f16_sdwa v6, v66, v69 dst_sel:DWORD dst_unused:UNUSED_PAD src0_sel:WORD_1 src1_sel:DWORD
	v_fma_f16 v49, v66, v50, -v6
	v_lshlrev_b64 v[6:7], 2, v[28:29]
	v_lshrrev_b32_e32 v50, 16, v51
	v_add_co_u32_e64 v21, s[0:1], s8, v6
	v_addc_co_u32_e64 v11, s[0:1], v11, v7, s[0:1]
	v_add_co_u32_e64 v21, s[0:1], s4, v21
	v_addc_co_u32_e64 v22, s[0:1], 0, v11, s[0:1]
	global_load_dword v11, v[21:22], off offset:1624
	ds_read2_b32 v[21:22], v65 offset0:96 offset1:192
	s_waitcnt vmcnt(13)
	v_mul_f16_sdwa v28, v80, v50 dst_sel:DWORD dst_unused:UNUSED_PAD src0_sel:WORD_1 src1_sel:DWORD
	v_fma_f16 v52, v80, v51, -v28
	v_mul_f16_sdwa v28, v80, v51 dst_sel:DWORD dst_unused:UNUSED_PAD src0_sel:WORD_1 src1_sel:DWORD
	v_fma_f16 v50, v80, v50, v28
	s_waitcnt lgkmcnt(0)
	v_lshrrev_b32_e32 v28, 16, v21
	s_waitcnt vmcnt(12)
	v_mul_f16_sdwa v29, v81, v21 dst_sel:DWORD dst_unused:UNUSED_PAD src0_sel:WORD_1 src1_sel:DWORD
	v_fma_f16 v51, v81, v28, v29
	v_mul_f16_sdwa v28, v81, v28 dst_sel:DWORD dst_unused:UNUSED_PAD src0_sel:WORD_1 src1_sel:DWORD
	v_fma_f16 v53, v81, v21, -v28
	ds_read2_b32 v[28:29], v58 offset0:32 offset1:128
	v_lshrrev_b32_e32 v21, 16, v22
	s_waitcnt vmcnt(11)
	v_mul_f16_sdwa v54, v21, v82 dst_sel:DWORD dst_unused:UNUSED_PAD src0_sel:DWORD src1_sel:WORD_1
	v_fma_f16 v54, v22, v82, -v54
	v_mul_f16_sdwa v22, v22, v82 dst_sel:DWORD dst_unused:UNUSED_PAD src0_sel:DWORD src1_sel:WORD_1
	v_fma_f16 v55, v21, v82, v22
	s_waitcnt lgkmcnt(0)
	v_lshrrev_b32_e32 v21, 16, v28
	s_waitcnt vmcnt(10)
	v_mul_f16_sdwa v22, v28, v83 dst_sel:DWORD dst_unused:UNUSED_PAD src0_sel:DWORD src1_sel:WORD_1
	v_fma_f16 v58, v21, v83, v22
	v_mul_f16_sdwa v21, v21, v83 dst_sel:DWORD dst_unused:UNUSED_PAD src0_sel:DWORD src1_sel:WORD_1
	v_fma_f16 v65, v28, v83, -v21
	ds_read2_b32 v[21:22], v79 offset0:96 offset1:192
	v_lshrrev_b32_e32 v28, 16, v29
	s_waitcnt vmcnt(9)
	v_mul_f16_sdwa v66, v28, v84 dst_sel:DWORD dst_unused:UNUSED_PAD src0_sel:DWORD src1_sel:WORD_1
	v_fma_f16 v66, v29, v84, -v66
	v_mul_f16_sdwa v29, v29, v84 dst_sel:DWORD dst_unused:UNUSED_PAD src0_sel:DWORD src1_sel:WORD_1
	v_fma_f16 v69, v28, v84, v29
	s_waitcnt lgkmcnt(0)
	v_lshrrev_b32_e32 v28, 16, v21
	s_waitcnt vmcnt(8)
	v_mul_f16_sdwa v29, v21, v85 dst_sel:DWORD dst_unused:UNUSED_PAD src0_sel:DWORD src1_sel:WORD_1
	v_fma_f16 v79, v28, v85, v29
	v_mul_f16_sdwa v28, v28, v85 dst_sel:DWORD dst_unused:UNUSED_PAD src0_sel:DWORD src1_sel:WORD_1
	;; [unrolled: 14-line block ×5, first 2 shown]
	v_fma_f16 v28, v28, v45, -v44
	v_lshrrev_b32_e32 v44, 16, v29
	s_waitcnt vmcnt(1)
	v_mul_f16_sdwa v45, v44, v23 dst_sel:DWORD dst_unused:UNUSED_PAD src0_sel:DWORD src1_sel:WORD_1
	v_fma_f16 v45, v29, v23, -v45
	v_mul_f16_sdwa v29, v29, v23 dst_sel:DWORD dst_unused:UNUSED_PAD src0_sel:DWORD src1_sel:WORD_1
	v_fma_f16 v23, v44, v23, v29
	ds_read_b32 v29, v56 offset:11136
	ds_read_b32 v44, v77
	ds_read_b32 v84, v76
	;; [unrolled: 1-line block ×7, first 2 shown]
	s_waitcnt lgkmcnt(7)
	v_lshrrev_b32_e32 v90, 16, v29
	v_cmp_ne_u32_e64 s[0:1], 0, v12
	s_waitcnt vmcnt(0)
	v_mul_f16_sdwa v91, v90, v11 dst_sel:DWORD dst_unused:UNUSED_PAD src0_sel:DWORD src1_sel:WORD_1
	v_fma_f16 v91, v29, v11, -v91
	v_mul_f16_sdwa v29, v29, v11 dst_sel:DWORD dst_unused:UNUSED_PAD src0_sel:DWORD src1_sel:WORD_1
	v_fma_f16 v11, v90, v11, v29
	s_waitcnt lgkmcnt(0)
	v_sub_f16_e32 v29, v89, v49
	v_lshrrev_b32_e32 v49, 16, v89
	v_sub_f16_e32 v8, v49, v8
	v_fma_f16 v89, v89, 2.0, -v29
	v_fma_f16 v49, v49, 2.0, -v8
	v_pack_b32_f16 v49, v89, v49
	ds_read_b32 v89, v75
	ds_read_b32 v90, v74
	;; [unrolled: 1-line block ×8, first 2 shown]
	v_pack_b32_f16 v8, v29, v8
	s_waitcnt lgkmcnt(0)
	s_barrier
	v_lshrrev_b32_e32 v29, 16, v96
	ds_write_b32 v56, v49
	ds_write_b32 v56, v8 offset:5760
	v_sub_f16_e32 v8, v96, v52
	v_sub_f16_e32 v49, v29, v50
	v_fma_f16 v50, v96, 2.0, -v8
	v_fma_f16 v29, v29, 2.0, -v49
	v_pack_b32_f16 v29, v50, v29
	ds_write_b32 v71, v29
	v_pack_b32_f16 v8, v8, v49
	v_lshrrev_b32_e32 v29, 16, v95
	ds_write_b32 v71, v8 offset:5760
	v_sub_f16_e32 v8, v95, v53
	v_sub_f16_e32 v49, v29, v51
	v_fma_f16 v50, v95, 2.0, -v8
	v_fma_f16 v29, v29, 2.0, -v49
	v_pack_b32_f16 v29, v50, v29
	ds_write_b32 v70, v29
	v_pack_b32_f16 v8, v8, v49
	v_lshrrev_b32_e32 v29, 16, v86
	;; [unrolled: 9-line block ×8, first 2 shown]
	ds_write_b32 v75, v8 offset:5760
	v_sub_f16_e32 v8, v90, v59
	v_sub_f16_e32 v44, v29, v47
	v_fma_f16 v46, v90, 2.0, -v8
	v_fma_f16 v29, v29, 2.0, -v44
	v_pack_b32_f16 v8, v8, v44
	v_pack_b32_f16 v29, v46, v29
	ds_write_b32 v74, v8 offset:5760
	v_sub_f16_e32 v8, v87, v21
	v_lshrrev_b32_e32 v21, 16, v87
	ds_write_b32 v74, v29
	v_sub_f16_e32 v29, v21, v83
	v_fma_f16 v44, v87, 2.0, -v8
	v_fma_f16 v21, v21, 2.0, -v29
	v_pack_b32_f16 v21, v44, v21
	ds_write_b32 v60, v21
	v_pack_b32_f16 v8, v8, v29
	v_lshrrev_b32_e32 v21, 16, v92
	ds_write_b32 v60, v8 offset:5760
	v_sub_f16_e32 v8, v92, v64
	v_sub_f16_e32 v22, v21, v22
	v_fma_f16 v29, v92, 2.0, -v8
	v_fma_f16 v21, v21, 2.0, -v22
	v_pack_b32_f16 v21, v29, v21
	ds_write_b32 v73, v21
	v_pack_b32_f16 v8, v8, v22
	v_lshrrev_b32_e32 v21, 16, v93
	ds_write_b32 v73, v8 offset:5760
	v_sub_f16_e32 v8, v93, v28
	v_sub_f16_e32 v22, v21, v48
	v_fma_f16 v28, v93, 2.0, -v8
	v_fma_f16 v21, v21, 2.0, -v22
	v_pack_b32_f16 v21, v28, v21
	ds_write_b32 v72, v21
	v_pack_b32_f16 v8, v8, v22
	v_lshrrev_b32_e32 v21, 16, v94
	ds_write_b32 v72, v8 offset:5760
	v_lshrrev_b32_e32 v8, 16, v97
	v_sub_f16_e32 v22, v94, v45
	v_sub_f16_e32 v23, v21, v23
	v_fma_f16 v28, v94, 2.0, -v22
	v_fma_f16 v21, v21, 2.0, -v23
	v_sub_f16_e32 v29, v97, v91
	v_sub_f16_e32 v11, v8, v11
	v_fma_f16 v44, v97, 2.0, -v29
	v_fma_f16 v8, v8, 2.0, -v11
	v_pack_b32_f16 v21, v28, v21
	ds_write_b32 v17, v21
	v_pack_b32_f16 v21, v22, v23
	v_pack_b32_f16 v8, v44, v8
	ds_write_b32 v17, v21 offset:5760
	ds_write_b32 v13, v8
	v_pack_b32_f16 v8, v29, v11
	ds_write_b32 v13, v8 offset:5760
	s_waitcnt lgkmcnt(0)
	s_barrier
	ds_read_b32 v23, v56
	v_sub_u32_e32 v8, 0, v57
                                        ; implicit-def: $vgpr21
                                        ; implicit-def: $vgpr11
                                        ; implicit-def: $vgpr22
	s_and_saveexec_b64 s[4:5], s[0:1]
	s_xor_b64 s[4:5], exec, s[4:5]
	s_cbranch_execz .LBB0_15
; %bb.14:
	v_mov_b32_e32 v11, s7
	v_add_co_u32_e64 v21, s[0:1], s6, v0
	v_addc_co_u32_e64 v22, s[0:1], v11, v1, s[0:1]
	global_load_dword v21, v[21:22], off
	ds_read_b32 v11, v8 offset:11520
	s_waitcnt lgkmcnt(0)
	v_add_f16_sdwa v22, v11, v23 dst_sel:DWORD dst_unused:UNUSED_PAD src0_sel:WORD_1 src1_sel:WORD_1
	v_sub_f16_e32 v29, v23, v11
	v_add_f16_e32 v28, v11, v23
	v_sub_f16_sdwa v11, v23, v11 dst_sel:DWORD dst_unused:UNUSED_PAD src0_sel:WORD_1 src1_sel:WORD_1
	v_mul_f16_e32 v23, 0.5, v22
	v_mul_f16_e32 v29, 0.5, v29
	;; [unrolled: 1-line block ×3, first 2 shown]
	s_waitcnt vmcnt(0)
	v_lshrrev_b32_e32 v22, 16, v21
	v_mul_f16_e32 v44, v22, v29
	v_fma_f16 v45, v23, v22, v11
	v_fma_f16 v46, v23, v22, -v11
	v_fma_f16 v11, v28, 0.5, v44
	v_fma_f16 v28, v28, 0.5, -v44
	v_fma_f16 v44, v21, v23, v11
	v_fma_f16 v22, -v21, v29, v45
	v_fma_f16 v11, -v21, v23, v28
	ds_write_b16 v56, v44
	v_fma_f16 v21, -v21, v29, v46
                                        ; implicit-def: $vgpr23
.LBB0_15:
	s_or_saveexec_b64 s[0:1], s[4:5]
	v_mul_i32_i24_e32 v18, 0xffffffdc, v18
	v_mul_i32_i24_e32 v16, 0xffffffdc, v16
	s_xor_b64 exec, exec, s[0:1]
	s_cbranch_execz .LBB0_17
; %bb.16:
	v_mov_b32_e32 v22, 0
	ds_read_u16 v21, v22 offset:5762
	s_waitcnt lgkmcnt(1)
	v_add_f16_sdwa v28, v23, v23 dst_sel:DWORD dst_unused:UNUSED_PAD src0_sel:WORD_1 src1_sel:DWORD
	v_sub_f16_sdwa v11, v23, v23 dst_sel:DWORD dst_unused:UNUSED_PAD src0_sel:DWORD src1_sel:WORD_1
	ds_write_b16 v56, v28
	s_waitcnt lgkmcnt(1)
	v_xor_b32_e32 v21, 0x8000, v21
	ds_write_b16 v22, v21 offset:5762
	v_mov_b32_e32 v21, 0
.LBB0_17:
	s_or_b64 exec, exec, s[0:1]
	s_waitcnt lgkmcnt(0)
	v_mov_b32_e32 v23, s7
	v_add_co_u32_e64 v2, s[0:1], s6, v2
	v_addc_co_u32_e64 v3, s[0:1], v23, v3, s[0:1]
	global_load_dword v23, v[2:3], off
	v_mov_b32_e32 v3, s7
	v_add_co_u32_e64 v2, s[0:1], s6, v4
	v_addc_co_u32_e64 v3, s[0:1], v3, v5, s[0:1]
	global_load_dword v28, v[2:3], off
	s_mov_b32 s0, 0x5040100
	v_mov_b32_e32 v3, s7
	v_perm_b32 v11, v21, v11, s0
	v_add_co_u32_e64 v2, s[0:1], s6, v9
	v_addc_co_u32_e64 v3, s[0:1], v3, v10, s[0:1]
	v_add_co_u32_e64 v4, s[0:1], s6, v40
	global_load_dword v40, v[2:3], off
	v_mov_b32_e32 v5, s7
	v_addc_co_u32_e64 v5, s[0:1], v5, v41, s[0:1]
	ds_write_b16 v56, v22 offset:2
	v_mov_b32_e32 v22, s7
	v_add_co_u32_e64 v2, s[0:1], s6, v38
	v_addc_co_u32_e64 v3, s[0:1], v22, v39, s[0:1]
	v_mov_b32_e32 v29, s7
	v_add_co_u32_e64 v9, s[0:1], s6, v36
	v_addc_co_u32_e64 v10, s[0:1], v29, v37, s[0:1]
	global_load_dword v29, v[4:5], off
	v_add_u32_e32 v18, v61, v18
	ds_write_b32 v8, v11 offset:11520
	ds_read_b32 v47, v8 offset:11136
	ds_read_b32 v11, v18
	s_mov_b32 s4, 0xffff
	v_mov_b32_e32 v44, s7
	v_add_co_u32_e64 v21, s[0:1], s6, v34
	s_waitcnt lgkmcnt(0)
	v_pk_add_f16 v4, v11, v47 neg_lo:[0,1] neg_hi:[0,1]
	v_pk_add_f16 v5, v11, v47
	v_bfi_b32 v11, s4, v4, v5
	v_bfi_b32 v4, s4, v5, v4
	v_pk_mul_f16 v5, v11, 0.5 op_sel_hi:[1,0]
	v_pk_mul_f16 v4, v4, 0.5 op_sel_hi:[1,0]
	v_addc_co_u32_e64 v22, s[0:1], v44, v35, s[0:1]
	v_add_u32_e32 v16, v62, v16
	v_mov_b32_e32 v45, s7
	v_mov_b32_e32 v46, s7
	s_waitcnt vmcnt(3)
	v_pk_fma_f16 v11, v23, v5, v4 op_sel:[1,0,0]
	v_pk_mul_f16 v34, v23, v5 op_sel_hi:[0,1]
	v_pk_fma_f16 v35, v23, v5, v4 op_sel:[1,0,0] neg_lo:[1,0,0] neg_hi:[1,0,0]
	v_pk_fma_f16 v4, v23, v5, v4 op_sel:[1,0,0] neg_lo:[0,0,1] neg_hi:[0,0,1]
	v_pk_add_f16 v5, v11, v34 op_sel:[0,1] op_sel_hi:[1,0]
	v_pk_add_f16 v11, v11, v34 op_sel:[0,1] op_sel_hi:[1,0] neg_lo:[0,1] neg_hi:[0,1]
	v_pk_add_f16 v23, v35, v34 op_sel:[0,1] op_sel_hi:[1,0] neg_lo:[0,1] neg_hi:[0,1]
	;; [unrolled: 1-line block ×3, first 2 shown]
	v_bfi_b32 v5, s4, v5, v11
	v_bfi_b32 v4, s4, v23, v4
	ds_write_b32 v18, v5
	ds_write_b32 v8, v4 offset:11136
	ds_read_b32 v11, v16
	ds_read_b32 v18, v8 offset:10752
	global_load_dword v23, v[2:3], off
	v_add_co_u32_e64 v4, s[0:1], s6, v32
	v_addc_co_u32_e64 v5, s[0:1], v45, v33, s[0:1]
	s_waitcnt lgkmcnt(0)
	v_pk_add_f16 v2, v11, v18 neg_lo:[0,1] neg_hi:[0,1]
	v_pk_add_f16 v3, v11, v18
	v_bfi_b32 v11, s4, v2, v3
	v_bfi_b32 v2, s4, v3, v2
	v_pk_mul_f16 v3, v11, 0.5 op_sel_hi:[1,0]
	v_pk_mul_f16 v2, v2, 0.5 op_sel_hi:[1,0]
	s_waitcnt vmcnt(3)
	v_pk_fma_f16 v11, v28, v3, v2 op_sel:[1,0,0]
	v_pk_mul_f16 v18, v28, v3 op_sel_hi:[0,1]
	v_pk_fma_f16 v32, v28, v3, v2 op_sel:[1,0,0] neg_lo:[1,0,0] neg_hi:[1,0,0]
	v_pk_fma_f16 v2, v28, v3, v2 op_sel:[1,0,0] neg_lo:[0,0,1] neg_hi:[0,0,1]
	v_pk_add_f16 v3, v11, v18 op_sel:[0,1] op_sel_hi:[1,0]
	v_pk_add_f16 v11, v11, v18 op_sel:[0,1] op_sel_hi:[1,0] neg_lo:[0,1] neg_hi:[0,1]
	v_pk_add_f16 v28, v32, v18 op_sel:[0,1] op_sel_hi:[1,0] neg_lo:[0,1] neg_hi:[0,1]
	;; [unrolled: 1-line block ×3, first 2 shown]
	v_bfi_b32 v3, s4, v3, v11
	v_bfi_b32 v2, s4, v28, v2
	ds_write_b32 v16, v3
	ds_write_b32 v8, v2 offset:10752
	ds_read_b32 v11, v68
	ds_read_b32 v16, v8 offset:10368
	global_load_dword v18, v[9:10], off
	v_add_co_u32_e64 v2, s[0:1], s6, v30
	v_addc_co_u32_e64 v3, s[0:1], v46, v31, s[0:1]
	s_waitcnt lgkmcnt(0)
	v_pk_add_f16 v9, v11, v16 neg_lo:[0,1] neg_hi:[0,1]
	v_pk_add_f16 v10, v11, v16
	v_bfi_b32 v11, s4, v9, v10
	v_bfi_b32 v9, s4, v10, v9
	v_pk_mul_f16 v16, v9, 0.5 op_sel_hi:[1,0]
	v_mov_b32_e32 v10, s7
	v_add_co_u32_e64 v9, s[0:1], s6, v42
	v_addc_co_u32_e64 v10, s[0:1], v10, v43, s[0:1]
	global_load_dword v28, v[21:22], off
	global_load_dword v30, v[4:5], off
	;; [unrolled: 1-line block ×4, first 2 shown]
	v_pk_mul_f16 v11, v11, 0.5 op_sel_hi:[1,0]
	s_waitcnt vmcnt(7)
	v_pk_fma_f16 v2, v40, v11, v16 op_sel:[1,0,0]
	v_pk_mul_f16 v3, v40, v11 op_sel_hi:[0,1]
	v_pk_add_f16 v4, v2, v3 op_sel:[0,1] op_sel_hi:[1,0]
	v_pk_add_f16 v2, v2, v3 op_sel:[0,1] op_sel_hi:[1,0] neg_lo:[0,1] neg_hi:[0,1]
	v_bfi_b32 v2, s4, v4, v2
	ds_write_b32 v68, v2
	v_pk_fma_f16 v2, v40, v11, v16 op_sel:[1,0,0] neg_lo:[1,0,0] neg_hi:[1,0,0]
	v_pk_fma_f16 v4, v40, v11, v16 op_sel:[1,0,0] neg_lo:[0,0,1] neg_hi:[0,0,1]
	v_pk_add_f16 v2, v2, v3 op_sel:[0,1] op_sel_hi:[1,0] neg_lo:[0,1] neg_hi:[0,1]
	v_pk_add_f16 v3, v4, v3 op_sel:[0,1] op_sel_hi:[1,0] neg_lo:[0,1] neg_hi:[0,1]
	v_bfi_b32 v2, s4, v2, v3
	ds_write_b32 v8, v2 offset:10368
	ds_read_b32 v2, v67
	ds_read_b32 v3, v8 offset:9984
	s_waitcnt lgkmcnt(0)
	v_pk_add_f16 v4, v2, v3 neg_lo:[0,1] neg_hi:[0,1]
	v_pk_add_f16 v2, v2, v3
	v_bfi_b32 v3, s4, v4, v2
	v_bfi_b32 v2, s4, v2, v4
	v_pk_mul_f16 v3, v3, 0.5 op_sel_hi:[1,0]
	v_pk_mul_f16 v2, v2, 0.5 op_sel_hi:[1,0]
	s_waitcnt vmcnt(6)
	v_pk_fma_f16 v4, v29, v3, v2 op_sel:[1,0,0]
	v_pk_mul_f16 v5, v29, v3 op_sel_hi:[0,1]
	v_pk_add_f16 v9, v4, v5 op_sel:[0,1] op_sel_hi:[1,0]
	v_pk_add_f16 v4, v4, v5 op_sel:[0,1] op_sel_hi:[1,0] neg_lo:[0,1] neg_hi:[0,1]
	v_bfi_b32 v4, s4, v9, v4
	ds_write_b32 v67, v4
	v_pk_fma_f16 v4, v29, v3, v2 op_sel:[1,0,0] neg_lo:[1,0,0] neg_hi:[1,0,0]
	v_pk_fma_f16 v2, v29, v3, v2 op_sel:[1,0,0] neg_lo:[0,0,1] neg_hi:[0,0,1]
	v_pk_add_f16 v4, v4, v5 op_sel:[0,1] op_sel_hi:[1,0] neg_lo:[0,1] neg_hi:[0,1]
	v_pk_add_f16 v2, v2, v5 op_sel:[0,1] op_sel_hi:[1,0] neg_lo:[0,1] neg_hi:[0,1]
	v_bfi_b32 v2, s4, v4, v2
	ds_write_b32 v8, v2 offset:9984
	ds_read_b32 v2, v63
	ds_read_b32 v3, v8 offset:9600
	s_waitcnt lgkmcnt(0)
	v_pk_add_f16 v4, v2, v3 neg_lo:[0,1] neg_hi:[0,1]
	v_pk_add_f16 v2, v2, v3
	v_bfi_b32 v3, s4, v4, v2
	v_bfi_b32 v2, s4, v2, v4
	v_pk_mul_f16 v3, v3, 0.5 op_sel_hi:[1,0]
	v_pk_mul_f16 v2, v2, 0.5 op_sel_hi:[1,0]
	s_waitcnt vmcnt(5)
	v_pk_fma_f16 v4, v23, v3, v2 op_sel:[1,0,0]
	v_pk_mul_f16 v5, v23, v3 op_sel_hi:[0,1]
	v_pk_add_f16 v9, v4, v5 op_sel:[0,1] op_sel_hi:[1,0]
	v_pk_add_f16 v4, v4, v5 op_sel:[0,1] op_sel_hi:[1,0] neg_lo:[0,1] neg_hi:[0,1]
	v_bfi_b32 v4, s4, v9, v4
	ds_write_b32 v63, v4
	v_pk_fma_f16 v4, v23, v3, v2 op_sel:[1,0,0] neg_lo:[1,0,0] neg_hi:[1,0,0]
	v_pk_fma_f16 v2, v23, v3, v2 op_sel:[1,0,0] neg_lo:[0,0,1] neg_hi:[0,0,1]
	v_pk_add_f16 v4, v4, v5 op_sel:[0,1] op_sel_hi:[1,0] neg_lo:[0,1] neg_hi:[0,1]
	v_pk_add_f16 v2, v2, v5 op_sel:[0,1] op_sel_hi:[1,0] neg_lo:[0,1] neg_hi:[0,1]
	v_bfi_b32 v2, s4, v4, v2
	ds_write_b32 v8, v2 offset:9600
	ds_read_b32 v2, v77
	ds_read_b32 v3, v8 offset:9216
	s_waitcnt lgkmcnt(0)
	v_pk_add_f16 v4, v2, v3 neg_lo:[0,1] neg_hi:[0,1]
	v_pk_add_f16 v2, v2, v3
	v_bfi_b32 v3, s4, v4, v2
	v_bfi_b32 v2, s4, v2, v4
	v_pk_mul_f16 v3, v3, 0.5 op_sel_hi:[1,0]
	v_pk_mul_f16 v2, v2, 0.5 op_sel_hi:[1,0]
	s_waitcnt vmcnt(4)
	v_pk_fma_f16 v4, v18, v3, v2 op_sel:[1,0,0]
	v_pk_mul_f16 v5, v18, v3 op_sel_hi:[0,1]
	v_pk_add_f16 v9, v4, v5 op_sel:[0,1] op_sel_hi:[1,0]
	v_pk_add_f16 v4, v4, v5 op_sel:[0,1] op_sel_hi:[1,0] neg_lo:[0,1] neg_hi:[0,1]
	v_bfi_b32 v4, s4, v9, v4
	ds_write_b32 v77, v4
	v_pk_fma_f16 v4, v18, v3, v2 op_sel:[1,0,0] neg_lo:[1,0,0] neg_hi:[1,0,0]
	v_pk_fma_f16 v2, v18, v3, v2 op_sel:[1,0,0] neg_lo:[0,0,1] neg_hi:[0,0,1]
	v_pk_add_f16 v4, v4, v5 op_sel:[0,1] op_sel_hi:[1,0] neg_lo:[0,1] neg_hi:[0,1]
	v_pk_add_f16 v2, v2, v5 op_sel:[0,1] op_sel_hi:[1,0] neg_lo:[0,1] neg_hi:[0,1]
	v_bfi_b32 v2, s4, v4, v2
	ds_write_b32 v8, v2 offset:9216
	ds_read_b32 v2, v76
	ds_read_b32 v3, v8 offset:8832
	s_waitcnt lgkmcnt(0)
	v_pk_add_f16 v4, v2, v3 neg_lo:[0,1] neg_hi:[0,1]
	v_pk_add_f16 v2, v2, v3
	v_bfi_b32 v3, s4, v4, v2
	v_bfi_b32 v2, s4, v2, v4
	v_pk_mul_f16 v3, v3, 0.5 op_sel_hi:[1,0]
	v_pk_mul_f16 v2, v2, 0.5 op_sel_hi:[1,0]
	s_waitcnt vmcnt(3)
	v_pk_fma_f16 v4, v28, v3, v2 op_sel:[1,0,0]
	v_pk_mul_f16 v5, v28, v3 op_sel_hi:[0,1]
	v_pk_add_f16 v9, v4, v5 op_sel:[0,1] op_sel_hi:[1,0]
	v_pk_add_f16 v4, v4, v5 op_sel:[0,1] op_sel_hi:[1,0] neg_lo:[0,1] neg_hi:[0,1]
	v_bfi_b32 v4, s4, v9, v4
	ds_write_b32 v76, v4
	v_pk_fma_f16 v4, v28, v3, v2 op_sel:[1,0,0] neg_lo:[1,0,0] neg_hi:[1,0,0]
	v_pk_fma_f16 v2, v28, v3, v2 op_sel:[1,0,0] neg_lo:[0,0,1] neg_hi:[0,0,1]
	v_pk_add_f16 v4, v4, v5 op_sel:[0,1] op_sel_hi:[1,0] neg_lo:[0,1] neg_hi:[0,1]
	v_pk_add_f16 v2, v2, v5 op_sel:[0,1] op_sel_hi:[1,0] neg_lo:[0,1] neg_hi:[0,1]
	v_bfi_b32 v2, s4, v4, v2
	ds_write_b32 v8, v2 offset:8832
	ds_read_b32 v2, v75
	ds_read_b32 v3, v8 offset:8448
	s_waitcnt lgkmcnt(0)
	v_pk_add_f16 v4, v2, v3 neg_lo:[0,1] neg_hi:[0,1]
	v_pk_add_f16 v2, v2, v3
	v_bfi_b32 v3, s4, v4, v2
	v_bfi_b32 v2, s4, v2, v4
	v_pk_mul_f16 v4, v3, 0.5 op_sel_hi:[1,0]
	v_pk_mul_f16 v5, v2, 0.5 op_sel_hi:[1,0]
	s_waitcnt vmcnt(2)
	v_pk_fma_f16 v2, v30, v4, v5 op_sel:[1,0,0]
	v_pk_mul_f16 v9, v30, v4 op_sel_hi:[0,1]
	v_pk_add_f16 v3, v2, v9 op_sel:[0,1] op_sel_hi:[1,0]
	v_pk_add_f16 v2, v2, v9 op_sel:[0,1] op_sel_hi:[1,0] neg_lo:[0,1] neg_hi:[0,1]
	v_bfi_b32 v2, s4, v3, v2
	ds_write_b32 v75, v2
	v_pk_fma_f16 v2, v30, v4, v5 op_sel:[1,0,0] neg_lo:[1,0,0] neg_hi:[1,0,0]
	v_pk_add_f16 v10, v2, v9 op_sel:[0,1] op_sel_hi:[1,0] neg_lo:[0,1] neg_hi:[0,1]
	v_mov_b32_e32 v3, s7
	v_add_co_u32_e64 v2, s[0:1], s6, v26
	v_addc_co_u32_e64 v3, s[0:1], v3, v27, s[0:1]
	global_load_dword v11, v[2:3], off
	v_pk_fma_f16 v2, v30, v4, v5 op_sel:[1,0,0] neg_lo:[0,0,1] neg_hi:[0,0,1]
	v_pk_add_f16 v2, v2, v9 op_sel:[0,1] op_sel_hi:[1,0] neg_lo:[0,1] neg_hi:[0,1]
	v_bfi_b32 v2, s4, v10, v2
	ds_write_b32 v8, v2 offset:8448
	ds_read_b32 v2, v74
	ds_read_b32 v3, v8 offset:8064
	s_waitcnt lgkmcnt(0)
	v_pk_add_f16 v4, v2, v3 neg_lo:[0,1] neg_hi:[0,1]
	v_pk_add_f16 v2, v2, v3
	v_bfi_b32 v3, s4, v4, v2
	v_bfi_b32 v2, s4, v2, v4
	v_pk_mul_f16 v4, v3, 0.5 op_sel_hi:[1,0]
	v_pk_mul_f16 v5, v2, 0.5 op_sel_hi:[1,0]
	v_mov_b32_e32 v3, s7
	v_add_co_u32_e64 v2, s[0:1], s6, v24
	v_addc_co_u32_e64 v3, s[0:1], v3, v25, s[0:1]
	global_load_dword v16, v[2:3], off
	s_waitcnt vmcnt(3)
	v_pk_fma_f16 v9, v31, v4, v5 op_sel:[1,0,0]
	v_pk_mul_f16 v10, v31, v4 op_sel_hi:[0,1]
	v_pk_add_f16 v2, v9, v10 op_sel:[0,1] op_sel_hi:[1,0]
	v_pk_add_f16 v3, v9, v10 op_sel:[0,1] op_sel_hi:[1,0] neg_lo:[0,1] neg_hi:[0,1]
	v_bfi_b32 v2, s4, v2, v3
	ds_write_b32 v74, v2
	v_pk_fma_f16 v2, v31, v4, v5 op_sel:[1,0,0] neg_lo:[1,0,0] neg_hi:[1,0,0]
	v_pk_fma_f16 v3, v31, v4, v5 op_sel:[1,0,0] neg_lo:[0,0,1] neg_hi:[0,0,1]
	v_pk_add_f16 v2, v2, v10 op_sel:[0,1] op_sel_hi:[1,0] neg_lo:[0,1] neg_hi:[0,1]
	v_pk_add_f16 v3, v3, v10 op_sel:[0,1] op_sel_hi:[1,0] neg_lo:[0,1] neg_hi:[0,1]
	v_bfi_b32 v2, s4, v2, v3
	ds_write_b32 v8, v2 offset:8064
	ds_read_b32 v2, v60
	ds_read_b32 v3, v8 offset:7680
	s_waitcnt lgkmcnt(0)
	v_pk_add_f16 v4, v2, v3 neg_lo:[0,1] neg_hi:[0,1]
	v_pk_add_f16 v5, v2, v3
	v_mov_b32_e32 v3, s7
	v_add_co_u32_e64 v2, s[0:1], s6, v19
	v_addc_co_u32_e64 v3, s[0:1], v3, v20, s[0:1]
	global_load_dword v9, v[2:3], off
	v_bfi_b32 v2, s4, v4, v5
	v_bfi_b32 v3, s4, v5, v4
	v_pk_mul_f16 v2, v2, 0.5 op_sel_hi:[1,0]
	v_pk_mul_f16 v3, v3, 0.5 op_sel_hi:[1,0]
	s_waitcnt vmcnt(3)
	v_pk_fma_f16 v4, v32, v2, v3 op_sel:[1,0,0]
	v_pk_mul_f16 v5, v32, v2 op_sel_hi:[0,1]
	v_pk_add_f16 v10, v4, v5 op_sel:[0,1] op_sel_hi:[1,0]
	v_pk_add_f16 v4, v4, v5 op_sel:[0,1] op_sel_hi:[1,0] neg_lo:[0,1] neg_hi:[0,1]
	v_bfi_b32 v4, s4, v10, v4
	ds_write_b32 v60, v4
	v_pk_fma_f16 v4, v32, v2, v3 op_sel:[1,0,0] neg_lo:[1,0,0] neg_hi:[1,0,0]
	v_pk_fma_f16 v2, v32, v2, v3 op_sel:[1,0,0] neg_lo:[0,0,1] neg_hi:[0,0,1]
	v_pk_add_f16 v4, v4, v5 op_sel:[0,1] op_sel_hi:[1,0] neg_lo:[0,1] neg_hi:[0,1]
	v_pk_add_f16 v2, v2, v5 op_sel:[0,1] op_sel_hi:[1,0] neg_lo:[0,1] neg_hi:[0,1]
	v_bfi_b32 v2, s4, v4, v2
	ds_write_b32 v8, v2 offset:7680
	v_mov_b32_e32 v3, s7
	v_add_co_u32_e64 v2, s[0:1], s6, v6
	v_addc_co_u32_e64 v3, s[0:1], v3, v7, s[0:1]
	ds_read_b32 v4, v73
	ds_read_b32 v5, v8 offset:7296
	global_load_dword v2, v[2:3], off
	s_waitcnt lgkmcnt(0)
	v_pk_add_f16 v3, v4, v5 neg_lo:[0,1] neg_hi:[0,1]
	v_pk_add_f16 v4, v4, v5
	v_bfi_b32 v5, s4, v3, v4
	v_bfi_b32 v3, s4, v4, v3
	v_pk_mul_f16 v4, v5, 0.5 op_sel_hi:[1,0]
	v_pk_mul_f16 v3, v3, 0.5 op_sel_hi:[1,0]
	s_waitcnt vmcnt(3)
	v_pk_fma_f16 v5, v11, v4, v3 op_sel:[1,0,0]
	v_pk_mul_f16 v6, v11, v4 op_sel_hi:[0,1]
	v_pk_add_f16 v7, v5, v6 op_sel:[0,1] op_sel_hi:[1,0]
	v_pk_add_f16 v5, v5, v6 op_sel:[0,1] op_sel_hi:[1,0] neg_lo:[0,1] neg_hi:[0,1]
	v_bfi_b32 v5, s4, v7, v5
	ds_write_b32 v73, v5
	v_pk_fma_f16 v5, v11, v4, v3 op_sel:[1,0,0] neg_lo:[1,0,0] neg_hi:[1,0,0]
	v_pk_fma_f16 v3, v11, v4, v3 op_sel:[1,0,0] neg_lo:[0,0,1] neg_hi:[0,0,1]
	v_pk_add_f16 v5, v5, v6 op_sel:[0,1] op_sel_hi:[1,0] neg_lo:[0,1] neg_hi:[0,1]
	v_pk_add_f16 v3, v3, v6 op_sel:[0,1] op_sel_hi:[1,0] neg_lo:[0,1] neg_hi:[0,1]
	v_bfi_b32 v3, s4, v5, v3
	ds_write_b32 v8, v3 offset:7296
	ds_read_b32 v3, v72
	ds_read_b32 v4, v8 offset:6912
	s_waitcnt lgkmcnt(0)
	v_pk_add_f16 v5, v3, v4 neg_lo:[0,1] neg_hi:[0,1]
	v_pk_add_f16 v3, v3, v4
	v_bfi_b32 v4, s4, v5, v3
	v_bfi_b32 v3, s4, v3, v5
	v_pk_mul_f16 v4, v4, 0.5 op_sel_hi:[1,0]
	v_pk_mul_f16 v3, v3, 0.5 op_sel_hi:[1,0]
	s_waitcnt vmcnt(2)
	v_pk_fma_f16 v5, v16, v4, v3 op_sel:[1,0,0]
	v_pk_mul_f16 v6, v16, v4 op_sel_hi:[0,1]
	v_pk_add_f16 v7, v5, v6 op_sel:[0,1] op_sel_hi:[1,0]
	v_pk_add_f16 v5, v5, v6 op_sel:[0,1] op_sel_hi:[1,0] neg_lo:[0,1] neg_hi:[0,1]
	v_bfi_b32 v5, s4, v7, v5
	ds_write_b32 v72, v5
	v_pk_fma_f16 v5, v16, v4, v3 op_sel:[1,0,0] neg_lo:[1,0,0] neg_hi:[1,0,0]
	v_pk_fma_f16 v3, v16, v4, v3 op_sel:[1,0,0] neg_lo:[0,0,1] neg_hi:[0,0,1]
	v_pk_add_f16 v5, v5, v6 op_sel:[0,1] op_sel_hi:[1,0] neg_lo:[0,1] neg_hi:[0,1]
	v_pk_add_f16 v3, v3, v6 op_sel:[0,1] op_sel_hi:[1,0] neg_lo:[0,1] neg_hi:[0,1]
	v_bfi_b32 v3, s4, v5, v3
	ds_write_b32 v8, v3 offset:6912
	ds_read_b32 v3, v17
	ds_read_b32 v4, v8 offset:6528
	;; [unrolled: 22-line block ×3, first 2 shown]
	s_waitcnt lgkmcnt(0)
	v_pk_add_f16 v5, v3, v4 neg_lo:[0,1] neg_hi:[0,1]
	v_pk_add_f16 v3, v3, v4
	v_bfi_b32 v4, s4, v5, v3
	v_bfi_b32 v3, s4, v3, v5
	v_pk_mul_f16 v4, v4, 0.5 op_sel_hi:[1,0]
	v_pk_mul_f16 v3, v3, 0.5 op_sel_hi:[1,0]
	s_waitcnt vmcnt(0)
	v_pk_fma_f16 v5, v2, v4, v3 op_sel:[1,0,0]
	v_pk_mul_f16 v6, v2, v4 op_sel_hi:[0,1]
	v_pk_add_f16 v7, v5, v6 op_sel:[0,1] op_sel_hi:[1,0]
	v_pk_add_f16 v5, v5, v6 op_sel:[0,1] op_sel_hi:[1,0] neg_lo:[0,1] neg_hi:[0,1]
	v_bfi_b32 v5, s4, v7, v5
	ds_write_b32 v13, v5
	v_pk_fma_f16 v5, v2, v4, v3 op_sel:[1,0,0] neg_lo:[1,0,0] neg_hi:[1,0,0]
	v_pk_fma_f16 v2, v2, v4, v3 op_sel:[1,0,0] neg_lo:[0,0,1] neg_hi:[0,0,1]
	v_pk_add_f16 v5, v5, v6 op_sel:[0,1] op_sel_hi:[1,0] neg_lo:[0,1] neg_hi:[0,1]
	v_pk_add_f16 v2, v2, v6 op_sel:[0,1] op_sel_hi:[1,0] neg_lo:[0,1] neg_hi:[0,1]
	v_bfi_b32 v2, s4, v5, v2
	ds_write_b32 v8, v2 offset:6144
	s_waitcnt lgkmcnt(0)
	s_barrier
	s_and_saveexec_b64 s[0:1], vcc
	s_cbranch_execz .LBB0_20
; %bb.18:
	ds_read2_b32 v[4:5], v56 offset1:96
	v_mov_b32_e32 v2, s3
	v_add_co_u32_e32 v3, vcc, s2, v14
	v_add_u32_e32 v6, 0x200, v56
	v_addc_co_u32_e32 v2, vcc, v2, v15, vcc
	ds_read2_b32 v[6:7], v6 offset0:64 offset1:160
	v_add_co_u32_e32 v0, vcc, v3, v0
	v_add_u32_e32 v8, 0x400, v56
	v_addc_co_u32_e32 v1, vcc, v2, v1, vcc
	ds_read2_b32 v[8:9], v8 offset0:128 offset1:224
	s_waitcnt lgkmcnt(2)
	global_store_dword v[0:1], v4, off
	global_store_dword v[0:1], v5, off offset:384
	s_waitcnt lgkmcnt(1)
	global_store_dword v[0:1], v6, off offset:768
	global_store_dword v[0:1], v7, off offset:1152
	s_waitcnt lgkmcnt(0)
	global_store_dword v[0:1], v8, off offset:1536
	global_store_dword v[0:1], v9, off offset:1920
	v_add_u32_e32 v4, 0x800, v56
	ds_read2_b32 v[4:5], v4 offset0:64 offset1:160
	v_add_u32_e32 v6, 0xc00, v56
	ds_read2_b32 v[6:7], v6 offset1:96
	v_add_u32_e32 v8, 0xe00, v56
	ds_read2_b32 v[8:9], v8 offset0:64 offset1:160
	s_waitcnt lgkmcnt(2)
	global_store_dword v[0:1], v4, off offset:2304
	global_store_dword v[0:1], v5, off offset:2688
	s_waitcnt lgkmcnt(1)
	global_store_dword v[0:1], v6, off offset:3072
	global_store_dword v[0:1], v7, off offset:3456
	s_waitcnt lgkmcnt(0)
	global_store_dword v[0:1], v8, off offset:3840
	v_add_u32_e32 v0, 0x420, v12
	v_mov_b32_e32 v1, 0
	v_lshlrev_b64 v[4:5], 2, v[0:1]
	v_or_b32_e32 v0, 0x480, v12
	v_add_co_u32_e32 v4, vcc, v3, v4
	v_addc_co_u32_e32 v5, vcc, v2, v5, vcc
	global_store_dword v[4:5], v9, off
	v_add_u32_e32 v4, 0x1000, v56
	ds_read2_b32 v[4:5], v4 offset0:128 offset1:224
	v_lshlrev_b64 v[6:7], 2, v[0:1]
	v_add_u32_e32 v0, 0x4e0, v12
	v_add_co_u32_e32 v6, vcc, v3, v6
	v_addc_co_u32_e32 v7, vcc, v2, v7, vcc
	s_waitcnt lgkmcnt(0)
	global_store_dword v[6:7], v4, off
	v_lshlrev_b64 v[6:7], 2, v[0:1]
	v_add_u32_e32 v4, 0x1400, v56
	v_add_co_u32_e32 v6, vcc, v3, v6
	v_addc_co_u32_e32 v7, vcc, v2, v7, vcc
	global_store_dword v[6:7], v5, off
	v_add_u32_e32 v0, 0x540, v12
	ds_read2_b32 v[4:5], v4 offset0:64 offset1:160
	v_lshlrev_b64 v[6:7], 2, v[0:1]
	v_add_u32_e32 v0, 0x5a0, v12
	v_add_co_u32_e32 v6, vcc, v3, v6
	v_addc_co_u32_e32 v7, vcc, v2, v7, vcc
	s_waitcnt lgkmcnt(0)
	global_store_dword v[6:7], v4, off
	v_lshlrev_b64 v[6:7], 2, v[0:1]
	v_add_u32_e32 v4, 0x1800, v56
	v_add_co_u32_e32 v6, vcc, v3, v6
	v_addc_co_u32_e32 v7, vcc, v2, v7, vcc
	global_store_dword v[6:7], v5, off
	v_or_b32_e32 v0, 0x600, v12
	ds_read2_b32 v[4:5], v4 offset1:96
	v_lshlrev_b64 v[6:7], 2, v[0:1]
	v_add_u32_e32 v0, 0x660, v12
	v_add_co_u32_e32 v6, vcc, v3, v6
	v_addc_co_u32_e32 v7, vcc, v2, v7, vcc
	s_waitcnt lgkmcnt(0)
	global_store_dword v[6:7], v4, off
	v_lshlrev_b64 v[6:7], 2, v[0:1]
	v_add_u32_e32 v4, 0x1a00, v56
	v_add_co_u32_e32 v6, vcc, v3, v6
	v_addc_co_u32_e32 v7, vcc, v2, v7, vcc
	global_store_dword v[6:7], v5, off
	v_add_u32_e32 v0, 0x6c0, v12
	ds_read2_b32 v[4:5], v4 offset0:64 offset1:160
	v_lshlrev_b64 v[6:7], 2, v[0:1]
	v_add_u32_e32 v0, 0x720, v12
	v_add_co_u32_e32 v6, vcc, v3, v6
	v_addc_co_u32_e32 v7, vcc, v2, v7, vcc
	s_waitcnt lgkmcnt(0)
	global_store_dword v[6:7], v4, off
	v_lshlrev_b64 v[6:7], 2, v[0:1]
	v_add_u32_e32 v4, 0x1c00, v56
	v_add_co_u32_e32 v6, vcc, v3, v6
	v_addc_co_u32_e32 v7, vcc, v2, v7, vcc
	global_store_dword v[6:7], v5, off
	v_or_b32_e32 v0, 0x780, v12
	ds_read2_b32 v[4:5], v4 offset0:128 offset1:224
	v_lshlrev_b64 v[6:7], 2, v[0:1]
	v_add_u32_e32 v0, 0x7e0, v12
	v_add_co_u32_e32 v6, vcc, v3, v6
	v_addc_co_u32_e32 v7, vcc, v2, v7, vcc
	s_waitcnt lgkmcnt(0)
	global_store_dword v[6:7], v4, off
	v_lshlrev_b64 v[6:7], 2, v[0:1]
	v_add_u32_e32 v4, 0x2000, v56
	v_add_co_u32_e32 v6, vcc, v3, v6
	v_addc_co_u32_e32 v7, vcc, v2, v7, vcc
	global_store_dword v[6:7], v5, off
	v_add_u32_e32 v0, 0x840, v12
	ds_read2_b32 v[4:5], v4 offset0:64 offset1:160
	v_lshlrev_b64 v[6:7], 2, v[0:1]
	v_add_u32_e32 v0, 0x8a0, v12
	v_add_co_u32_e32 v6, vcc, v3, v6
	v_addc_co_u32_e32 v7, vcc, v2, v7, vcc
	s_waitcnt lgkmcnt(0)
	global_store_dword v[6:7], v4, off
	v_lshlrev_b64 v[6:7], 2, v[0:1]
	v_add_u32_e32 v4, 0x2400, v56
	v_add_co_u32_e32 v6, vcc, v3, v6
	v_addc_co_u32_e32 v7, vcc, v2, v7, vcc
	global_store_dword v[6:7], v5, off
	v_or_b32_e32 v0, 0x900, v12
	ds_read2_b32 v[4:5], v4 offset1:96
	v_lshlrev_b64 v[6:7], 2, v[0:1]
	v_add_u32_e32 v0, 0x960, v12
	v_add_co_u32_e32 v6, vcc, v3, v6
	v_addc_co_u32_e32 v7, vcc, v2, v7, vcc
	s_waitcnt lgkmcnt(0)
	global_store_dword v[6:7], v4, off
	v_lshlrev_b64 v[6:7], 2, v[0:1]
	v_add_u32_e32 v4, 0x2600, v56
	v_add_co_u32_e32 v6, vcc, v3, v6
	v_addc_co_u32_e32 v7, vcc, v2, v7, vcc
	global_store_dword v[6:7], v5, off
	v_add_u32_e32 v0, 0x9c0, v12
	ds_read2_b32 v[4:5], v4 offset0:64 offset1:160
	v_lshlrev_b64 v[6:7], 2, v[0:1]
	v_add_u32_e32 v0, 0xa20, v12
	v_add_co_u32_e32 v6, vcc, v3, v6
	v_addc_co_u32_e32 v7, vcc, v2, v7, vcc
	s_waitcnt lgkmcnt(0)
	global_store_dword v[6:7], v4, off
	v_lshlrev_b64 v[6:7], 2, v[0:1]
	v_add_u32_e32 v4, 0x2800, v56
	v_add_co_u32_e32 v6, vcc, v3, v6
	v_addc_co_u32_e32 v7, vcc, v2, v7, vcc
	global_store_dword v[6:7], v5, off
	v_or_b32_e32 v0, 0xa80, v12
	ds_read2_b32 v[4:5], v4 offset0:128 offset1:224
	v_lshlrev_b64 v[6:7], 2, v[0:1]
	v_add_u32_e32 v0, 0xae0, v12
	v_add_co_u32_e32 v6, vcc, v3, v6
	v_addc_co_u32_e32 v7, vcc, v2, v7, vcc
	s_waitcnt lgkmcnt(0)
	global_store_dword v[6:7], v4, off
	v_lshlrev_b64 v[6:7], 2, v[0:1]
	s_movk_i32 s0, 0x5f
	v_add_co_u32_e32 v6, vcc, v3, v6
	v_addc_co_u32_e32 v7, vcc, v2, v7, vcc
	v_cmp_eq_u32_e32 vcc, s0, v12
	global_store_dword v[6:7], v5, off
	s_and_b64 exec, exec, vcc
	s_cbranch_execz .LBB0_20
; %bb.19:
	ds_read_b32 v4, v1 offset:11520
	v_add_co_u32_e32 v0, vcc, 0x2000, v3
	v_addc_co_u32_e32 v1, vcc, 0, v2, vcc
	s_waitcnt lgkmcnt(0)
	global_store_dword v[0:1], v4, off offset:3328
.LBB0_20:
	s_endpgm
	.section	.rodata,"a",@progbits
	.p2align	6, 0x0
	.amdhsa_kernel fft_rtc_fwd_len2880_factors_10_6_6_2_2_2_wgs_96_tpt_96_halfLds_half_ip_CI_unitstride_sbrr_R2C_dirReg
		.amdhsa_group_segment_fixed_size 0
		.amdhsa_private_segment_fixed_size 0
		.amdhsa_kernarg_size 88
		.amdhsa_user_sgpr_count 6
		.amdhsa_user_sgpr_private_segment_buffer 1
		.amdhsa_user_sgpr_dispatch_ptr 0
		.amdhsa_user_sgpr_queue_ptr 0
		.amdhsa_user_sgpr_kernarg_segment_ptr 1
		.amdhsa_user_sgpr_dispatch_id 0
		.amdhsa_user_sgpr_flat_scratch_init 0
		.amdhsa_user_sgpr_private_segment_size 0
		.amdhsa_uses_dynamic_stack 0
		.amdhsa_system_sgpr_private_segment_wavefront_offset 0
		.amdhsa_system_sgpr_workgroup_id_x 1
		.amdhsa_system_sgpr_workgroup_id_y 0
		.amdhsa_system_sgpr_workgroup_id_z 0
		.amdhsa_system_sgpr_workgroup_info 0
		.amdhsa_system_vgpr_workitem_id 0
		.amdhsa_next_free_vgpr 127
		.amdhsa_next_free_sgpr 22
		.amdhsa_reserve_vcc 1
		.amdhsa_reserve_flat_scratch 0
		.amdhsa_float_round_mode_32 0
		.amdhsa_float_round_mode_16_64 0
		.amdhsa_float_denorm_mode_32 3
		.amdhsa_float_denorm_mode_16_64 3
		.amdhsa_dx10_clamp 1
		.amdhsa_ieee_mode 1
		.amdhsa_fp16_overflow 0
		.amdhsa_exception_fp_ieee_invalid_op 0
		.amdhsa_exception_fp_denorm_src 0
		.amdhsa_exception_fp_ieee_div_zero 0
		.amdhsa_exception_fp_ieee_overflow 0
		.amdhsa_exception_fp_ieee_underflow 0
		.amdhsa_exception_fp_ieee_inexact 0
		.amdhsa_exception_int_div_zero 0
	.end_amdhsa_kernel
	.text
.Lfunc_end0:
	.size	fft_rtc_fwd_len2880_factors_10_6_6_2_2_2_wgs_96_tpt_96_halfLds_half_ip_CI_unitstride_sbrr_R2C_dirReg, .Lfunc_end0-fft_rtc_fwd_len2880_factors_10_6_6_2_2_2_wgs_96_tpt_96_halfLds_half_ip_CI_unitstride_sbrr_R2C_dirReg
                                        ; -- End function
	.section	.AMDGPU.csdata,"",@progbits
; Kernel info:
; codeLenInByte = 22580
; NumSgprs: 26
; NumVgprs: 127
; ScratchSize: 0
; MemoryBound: 0
; FloatMode: 240
; IeeeMode: 1
; LDSByteSize: 0 bytes/workgroup (compile time only)
; SGPRBlocks: 3
; VGPRBlocks: 31
; NumSGPRsForWavesPerEU: 26
; NumVGPRsForWavesPerEU: 127
; Occupancy: 2
; WaveLimiterHint : 1
; COMPUTE_PGM_RSRC2:SCRATCH_EN: 0
; COMPUTE_PGM_RSRC2:USER_SGPR: 6
; COMPUTE_PGM_RSRC2:TRAP_HANDLER: 0
; COMPUTE_PGM_RSRC2:TGID_X_EN: 1
; COMPUTE_PGM_RSRC2:TGID_Y_EN: 0
; COMPUTE_PGM_RSRC2:TGID_Z_EN: 0
; COMPUTE_PGM_RSRC2:TIDIG_COMP_CNT: 0
	.type	__hip_cuid_3da0e01d7a7666f4,@object ; @__hip_cuid_3da0e01d7a7666f4
	.section	.bss,"aw",@nobits
	.globl	__hip_cuid_3da0e01d7a7666f4
__hip_cuid_3da0e01d7a7666f4:
	.byte	0                               ; 0x0
	.size	__hip_cuid_3da0e01d7a7666f4, 1

	.ident	"AMD clang version 19.0.0git (https://github.com/RadeonOpenCompute/llvm-project roc-6.4.0 25133 c7fe45cf4b819c5991fe208aaa96edf142730f1d)"
	.section	".note.GNU-stack","",@progbits
	.addrsig
	.addrsig_sym __hip_cuid_3da0e01d7a7666f4
	.amdgpu_metadata
---
amdhsa.kernels:
  - .args:
      - .actual_access:  read_only
        .address_space:  global
        .offset:         0
        .size:           8
        .value_kind:     global_buffer
      - .offset:         8
        .size:           8
        .value_kind:     by_value
      - .actual_access:  read_only
        .address_space:  global
        .offset:         16
        .size:           8
        .value_kind:     global_buffer
      - .actual_access:  read_only
        .address_space:  global
        .offset:         24
        .size:           8
        .value_kind:     global_buffer
      - .offset:         32
        .size:           8
        .value_kind:     by_value
      - .actual_access:  read_only
        .address_space:  global
        .offset:         40
        .size:           8
        .value_kind:     global_buffer
      - .actual_access:  read_only
        .address_space:  global
        .offset:         48
        .size:           8
        .value_kind:     global_buffer
      - .offset:         56
        .size:           4
        .value_kind:     by_value
      - .actual_access:  read_only
        .address_space:  global
        .offset:         64
        .size:           8
        .value_kind:     global_buffer
      - .actual_access:  read_only
        .address_space:  global
        .offset:         72
        .size:           8
        .value_kind:     global_buffer
      - .address_space:  global
        .offset:         80
        .size:           8
        .value_kind:     global_buffer
    .group_segment_fixed_size: 0
    .kernarg_segment_align: 8
    .kernarg_segment_size: 88
    .language:       OpenCL C
    .language_version:
      - 2
      - 0
    .max_flat_workgroup_size: 96
    .name:           fft_rtc_fwd_len2880_factors_10_6_6_2_2_2_wgs_96_tpt_96_halfLds_half_ip_CI_unitstride_sbrr_R2C_dirReg
    .private_segment_fixed_size: 0
    .sgpr_count:     26
    .sgpr_spill_count: 0
    .symbol:         fft_rtc_fwd_len2880_factors_10_6_6_2_2_2_wgs_96_tpt_96_halfLds_half_ip_CI_unitstride_sbrr_R2C_dirReg.kd
    .uniform_work_group_size: 1
    .uses_dynamic_stack: false
    .vgpr_count:     127
    .vgpr_spill_count: 0
    .wavefront_size: 64
amdhsa.target:   amdgcn-amd-amdhsa--gfx906
amdhsa.version:
  - 1
  - 2
...

	.end_amdgpu_metadata
